;; amdgpu-corpus repo=ROCm/rocFFT kind=compiled arch=gfx906 opt=O3
	.text
	.amdgcn_target "amdgcn-amd-amdhsa--gfx906"
	.amdhsa_code_object_version 6
	.protected	bluestein_single_fwd_len3456_dim1_dp_op_CI_CI ; -- Begin function bluestein_single_fwd_len3456_dim1_dp_op_CI_CI
	.globl	bluestein_single_fwd_len3456_dim1_dp_op_CI_CI
	.p2align	8
	.type	bluestein_single_fwd_len3456_dim1_dp_op_CI_CI,@function
bluestein_single_fwd_len3456_dim1_dp_op_CI_CI: ; @bluestein_single_fwd_len3456_dim1_dp_op_CI_CI
; %bb.0:
	s_load_dwordx4 s[16:19], s[4:5], 0x28
	s_mov_b64 s[38:39], s[2:3]
	v_mul_u32_u24_e32 v1, 0x1c8, v0
	s_mov_b64 s[36:37], s[0:1]
	v_add_u32_sdwa v2, s6, v1 dst_sel:DWORD dst_unused:UNUSED_PAD src0_sel:DWORD src1_sel:WORD_1
	v_mov_b32_e32 v3, 0
	s_add_u32 s36, s36, s7
	s_waitcnt lgkmcnt(0)
	v_cmp_gt_u64_e32 vcc, s[16:17], v[2:3]
	s_addc_u32 s37, s37, 0
	s_and_saveexec_b64 s[0:1], vcc
	s_cbranch_execz .LBB0_2
; %bb.1:
	s_load_dwordx4 s[0:3], s[4:5], 0x18
	s_load_dwordx4 s[8:11], s[4:5], 0x0
	v_mov_b32_e32 v4, v2
	s_movk_i32 s6, 0x90
	v_mul_lo_u16_sdwa v1, v1, s6 dst_sel:DWORD dst_unused:UNUSED_PAD src0_sel:WORD_1 src1_sel:DWORD
	s_waitcnt lgkmcnt(0)
	s_load_dwordx4 s[12:15], s[0:1], 0x0
	buffer_store_dword v4, off, s[36:39], 0 offset:372 ; 4-byte Folded Spill
	s_nop 0
	buffer_store_dword v5, off, s[36:39], 0 offset:376 ; 4-byte Folded Spill
	v_sub_u16_e32 v124, v0, v1
	v_lshlrev_b32_e32 v110, 4, v124
	s_movk_i32 s16, 0x2000
	s_waitcnt lgkmcnt(0)
	v_mad_u64_u32 v[0:1], s[0:1], s14, v2, 0
	v_mad_u64_u32 v[2:3], s[0:1], s12, v124, 0
	s_add_u32 s14, s8, 0xd800
	s_mul_hi_u32 s7, s12, 0x2400
	s_mul_i32 s26, s12, 0x2400
	s_movk_i32 s17, 0x4000
	global_load_dwordx4 v[46:49], v110, s[8:9]
	v_or_b32_e32 v23, 0x900, v124
	s_movk_i32 s23, 0x6000
	s_mov_b32 s24, 0xb000
	s_mul_i32 s27, s12, 0xffff5500
	buffer_store_dword v23, off, s[36:39], 0 offset:16 ; 4-byte Folded Spill
	s_movk_i32 s20, 0x3000
	s_mov_b32 s21, 0xa000
	s_mov_b32 s22, 0xc000
	v_mul_lo_u16_e32 v86, 6, v124
	v_lshlrev_b32_e32 v86, 4, v86
	s_load_dwordx2 s[4:5], s[4:5], 0x38
	v_mad_u64_u32 v[4:5], s[0:1], s15, v4, v[1:2]
	s_addc_u32 s15, s9, 0
	v_mad_u64_u32 v[5:6], s[0:1], s13, v124, v[3:4]
	v_mov_b32_e32 v1, v4
	v_lshlrev_b64 v[0:1], 4, v[0:1]
	v_mov_b32_e32 v3, v5
	v_add_co_u32_e32 v19, vcc, s18, v0
	v_mov_b32_e32 v0, s19
	v_addc_co_u32_e32 v22, vcc, v0, v1, vcc
	v_lshlrev_b64 v[0:1], 4, v[2:3]
	v_mov_b32_e32 v6, s9
	v_add_co_u32_e32 v4, vcc, v19, v0
	v_addc_co_u32_e32 v5, vcc, v22, v1, vcc
	v_add_co_u32_e32 v80, vcc, s8, v110
	s_mul_i32 s0, s13, 0x2400
	v_addc_co_u32_e32 v81, vcc, 0, v6, vcc
	s_add_i32 s7, s7, s0
	global_load_dwordx4 v[0:3], v[4:5], off
	v_add_co_u32_e32 v8, vcc, s26, v4
	v_mov_b32_e32 v4, s7
	v_addc_co_u32_e32 v9, vcc, v5, v4, vcc
	v_add_co_u32_e32 v28, vcc, s16, v80
	v_addc_co_u32_e32 v29, vcc, 0, v81, vcc
	global_load_dwordx4 v[4:7], v[8:9], off
	v_add_co_u32_e32 v12, vcc, s26, v8
	v_mov_b32_e32 v8, s7
	v_addc_co_u32_e32 v13, vcc, v9, v8, vcc
	v_add_co_u32_e32 v14, vcc, s17, v80
	global_load_dwordx4 v[50:53], v[28:29], off offset:1024
	v_addc_co_u32_e32 v15, vcc, 0, v81, vcc
	global_load_dwordx4 v[54:57], v[14:15], off offset:2048
	v_mad_u64_u32 v[16:17], s[0:1], s12, v23, 0
	global_load_dwordx4 v[8:11], v[12:13], off
	v_add_co_u32_e32 v20, vcc, s26, v12
	v_mad_u64_u32 v[17:18], s[0:1], s13, v23, v[17:18]
	v_mov_b32_e32 v12, s7
	v_addc_co_u32_e32 v21, vcc, v13, v12, vcc
	v_add_co_u32_e32 v72, vcc, s23, v80
	v_lshlrev_b64 v[16:17], 4, v[16:17]
	v_addc_co_u32_e32 v73, vcc, 0, v81, vcc
	v_add_co_u32_e32 v16, vcc, v19, v16
	v_addc_co_u32_e32 v17, vcc, v22, v17, vcc
	v_mov_b32_e32 v22, 0x4800
	v_mad_u64_u32 v[24:25], s[0:1], s12, v22, v[20:21]
	s_mul_i32 s0, s13, 0x4800
	s_mul_hi_u32 s1, s12, 0xffff5500
	v_add_u32_e32 v25, s0, v25
	v_add_co_u32_e32 v40, vcc, s24, v80
	s_mul_i32 s0, s13, 0xffff5500
	s_sub_i32 s25, s1, s12
	global_load_dwordx4 v[12:15], v[20:21], off
	v_lshlrev_b32_e32 v20, 4, v23
	v_addc_co_u32_e32 v41, vcc, 0, v81, vcc
	s_add_i32 s25, s25, s0
	buffer_store_dword v20, off, s[36:39], 0 offset:408 ; 4-byte Folded Spill
	global_load_dwordx4 v[66:69], v20, s[8:9]
	v_add_co_u32_e32 v30, vcc, s27, v24
	global_load_dwordx4 v[20:23], v[24:25], off
	v_mov_b32_e32 v24, s25
	v_addc_co_u32_e32 v31, vcc, v25, v24, vcc
	global_load_dwordx4 v[58:61], v[72:73], off offset:3072
	global_load_dwordx4 v[62:65], v[40:41], off offset:1024
	s_movk_i32 s12, 0x5000
	global_load_dwordx4 v[16:19], v[16:17], off
	s_nop 0
	global_load_dwordx4 v[24:27], v[30:31], off
	global_load_dwordx4 v[74:77], v110, s[8:9] offset:2304
	s_waitcnt vmcnt(15)
	buffer_store_dword v46, off, s[36:39], 0 offset:132 ; 4-byte Folded Spill
	s_nop 0
	buffer_store_dword v47, off, s[36:39], 0 offset:136 ; 4-byte Folded Spill
	buffer_store_dword v48, off, s[36:39], 0 offset:140 ; 4-byte Folded Spill
	;; [unrolled: 1-line block ×3, first 2 shown]
	s_movk_i32 s13, 0x7000
	s_mov_b32 s18, 0x9000
	s_waitcnt vmcnt(15)
	buffer_store_dword v50, off, s[36:39], 0 offset:100 ; 4-byte Folded Spill
	s_nop 0
	buffer_store_dword v51, off, s[36:39], 0 offset:104 ; 4-byte Folded Spill
	buffer_store_dword v52, off, s[36:39], 0 offset:108 ; 4-byte Folded Spill
	buffer_store_dword v53, off, s[36:39], 0 offset:112 ; 4-byte Folded Spill
	s_waitcnt vmcnt(18)
	buffer_store_dword v54, off, s[36:39], 0 offset:84 ; 4-byte Folded Spill
	s_nop 0
	buffer_store_dword v55, off, s[36:39], 0 offset:88 ; 4-byte Folded Spill
	buffer_store_dword v56, off, s[36:39], 0 offset:92 ; 4-byte Folded Spill
	;; [unrolled: 1-line block ×3, first 2 shown]
	s_load_dwordx4 s[0:3], s[2:3], 0x0
	s_movk_i32 s19, 0x1000
	s_mov_b32 s9, 0xbfebb67a
	v_mul_f64 v[32:33], v[2:3], v[48:49]
	v_mul_f64 v[34:35], v[0:1], v[48:49]
	v_mov_b32_e32 v48, s7
	v_fma_f64 v[0:1], v[0:1], v[46:47], v[32:33]
	v_fma_f64 v[2:3], v[2:3], v[46:47], -v[34:35]
	v_mul_f64 v[36:37], v[6:7], v[52:53]
	v_mul_f64 v[38:39], v[4:5], v[52:53]
	s_waitcnt vmcnt(21)
	v_mul_f64 v[42:43], v[10:11], v[56:57]
	v_mul_f64 v[44:45], v[8:9], v[56:57]
	v_fma_f64 v[4:5], v[4:5], v[50:51], v[36:37]
	v_fma_f64 v[6:7], v[6:7], v[50:51], -v[38:39]
	v_fma_f64 v[8:9], v[8:9], v[54:55], v[42:43]
	v_fma_f64 v[10:11], v[10:11], v[54:55], -v[44:45]
	ds_write_b128 v110, v[0:3]
	ds_write_b128 v110, v[4:7] offset:9216
	ds_write_b128 v110, v[8:11] offset:18432
	s_waitcnt vmcnt(16)
	buffer_store_dword v58, off, s[36:39], 0 offset:68 ; 4-byte Folded Spill
	s_nop 0
	buffer_store_dword v59, off, s[36:39], 0 offset:72 ; 4-byte Folded Spill
	buffer_store_dword v60, off, s[36:39], 0 offset:76 ; 4-byte Folded Spill
	;; [unrolled: 1-line block ×4, first 2 shown]
	s_nop 0
	buffer_store_dword v67, off, s[36:39], 0 offset:56 ; 4-byte Folded Spill
	buffer_store_dword v68, off, s[36:39], 0 offset:60 ; 4-byte Folded Spill
	;; [unrolled: 1-line block ×3, first 2 shown]
	s_waitcnt vmcnt(23)
	buffer_store_dword v62, off, s[36:39], 0 offset:36 ; 4-byte Folded Spill
	s_nop 0
	buffer_store_dword v63, off, s[36:39], 0 offset:40 ; 4-byte Folded Spill
	buffer_store_dword v64, off, s[36:39], 0 offset:44 ; 4-byte Folded Spill
	;; [unrolled: 1-line block ×3, first 2 shown]
	s_waitcnt vmcnt(24)
	buffer_store_dword v74, off, s[36:39], 0 offset:20 ; 4-byte Folded Spill
	s_nop 0
	buffer_store_dword v75, off, s[36:39], 0 offset:24 ; 4-byte Folded Spill
	buffer_store_dword v76, off, s[36:39], 0 offset:28 ; 4-byte Folded Spill
	;; [unrolled: 1-line block ×3, first 2 shown]
	v_mov_b32_e32 v44, s7
	v_mul_f64 v[0:1], v[14:15], v[60:61]
	v_mul_f64 v[8:9], v[18:19], v[68:69]
	v_mul_f64 v[32:33], v[22:23], v[64:65]
	v_mul_f64 v[2:3], v[12:13], v[60:61]
	v_mul_f64 v[10:11], v[16:17], v[68:69]
	v_mul_f64 v[34:35], v[20:21], v[64:65]
	v_mul_f64 v[36:37], v[26:27], v[76:77]
	v_mul_f64 v[38:39], v[24:25], v[76:77]
	v_fma_f64 v[4:5], v[12:13], v[58:59], v[0:1]
	v_fma_f64 v[8:9], v[16:17], v[66:67], v[8:9]
	;; [unrolled: 1-line block ×3, first 2 shown]
	v_add_co_u32_e32 v20, vcc, s26, v30
	v_mov_b32_e32 v12, s7
	v_addc_co_u32_e32 v21, vcc, v31, v12, vcc
	v_fma_f64 v[6:7], v[14:15], v[58:59], -v[2:3]
	v_fma_f64 v[10:11], v[18:19], v[66:67], -v[10:11]
	;; [unrolled: 1-line block ×3, first 2 shown]
	global_load_dwordx4 v[12:15], v[20:21], off
	global_load_dwordx4 v[82:85], v[28:29], off offset:3328
	v_add_co_u32_e32 v20, vcc, s26, v20
	v_mov_b32_e32 v22, s7
	v_addc_co_u32_e32 v21, vcc, v21, v22, vcc
	v_add_co_u32_e32 v22, vcc, s12, v80
	v_addc_co_u32_e32 v23, vcc, 0, v81, vcc
	v_fma_f64 v[0:1], v[24:25], v[74:75], v[36:37]
	v_fma_f64 v[2:3], v[26:27], v[74:75], -v[38:39]
	global_load_dwordx4 v[24:27], v[20:21], off
	v_add_co_u32_e32 v20, vcc, s26, v20
	v_mov_b32_e32 v28, s7
	v_addc_co_u32_e32 v21, vcc, v21, v28, vcc
	v_add_co_u32_e32 v56, vcc, s13, v80
	v_addc_co_u32_e32 v57, vcc, 0, v81, vcc
	global_load_dwordx4 v[149:152], v[22:23], off offset:256
	global_load_dwordx4 v[145:148], v[56:57], off offset:1280
	global_load_dwordx4 v[28:31], v[20:21], off
	v_add_co_u32_e32 v20, vcc, s26, v20
	v_mov_b32_e32 v32, s7
	v_addc_co_u32_e32 v21, vcc, v21, v32, vcc
	v_add_co_u32_e32 v36, vcc, s18, v80
	v_addc_co_u32_e32 v37, vcc, 0, v81, vcc
	global_load_dwordx4 v[141:144], v[36:37], off offset:2304
	global_load_dwordx4 v[32:35], v[20:21], off
	v_add_co_u32_e32 v20, vcc, s26, v20
	v_mov_b32_e32 v36, s7
	v_addc_co_u32_e32 v21, vcc, v21, v36, vcc
	global_load_dwordx4 v[36:39], v[20:21], off
	global_load_dwordx4 v[137:140], v[40:41], off offset:3328
	v_add_co_u32_e32 v20, vcc, s27, v20
	v_mov_b32_e32 v40, s25
	v_addc_co_u32_e32 v21, vcc, v21, v40, vcc
	v_add_co_u32_e32 v68, vcc, s19, v80
	v_addc_co_u32_e32 v69, vcc, 0, v81, vcc
	global_load_dwordx4 v[40:43], v[20:21], off
	v_add_co_u32_e32 v20, vcc, s26, v20
	v_addc_co_u32_e32 v21, vcc, v21, v44, vcc
	v_add_co_u32_e32 v78, vcc, s20, v80
	v_addc_co_u32_e32 v79, vcc, 0, v81, vcc
	global_load_dwordx4 v[44:47], v[20:21], off
	v_add_co_u32_e32 v20, vcc, s26, v20
	v_addc_co_u32_e32 v21, vcc, v21, v48, vcc
	global_load_dwordx4 v[133:136], v[68:69], off offset:512
	global_load_dwordx4 v[129:132], v[78:79], off offset:1536
	global_load_dwordx4 v[48:51], v[20:21], off
	global_load_dwordx4 v[125:128], v[22:23], off offset:2560
	v_add_co_u32_e32 v20, vcc, s26, v20
	v_mov_b32_e32 v22, s7
	v_addc_co_u32_e32 v21, vcc, v21, v22, vcc
	global_load_dwordx4 v[52:55], v[20:21], off
	global_load_dwordx4 v[119:122], v[56:57], off offset:3584
	v_add_co_u32_e32 v20, vcc, s26, v20
	v_addc_co_u32_e32 v21, vcc, v21, v22, vcc
	v_add_co_u32_e32 v76, vcc, s21, v80
	v_addc_co_u32_e32 v77, vcc, 0, v81, vcc
	global_load_dwordx4 v[56:59], v[20:21], off
	v_add_co_u32_e32 v20, vcc, s26, v20
	v_addc_co_u32_e32 v21, vcc, v21, v22, vcc
	global_load_dwordx4 v[60:63], v[20:21], off
	v_add_co_u32_e32 v74, vcc, s22, v80
	v_addc_co_u32_e32 v75, vcc, 0, v81, vcc
	v_add_co_u32_e32 v20, vcc, s27, v20
	v_mov_b32_e32 v22, s25
	v_addc_co_u32_e32 v21, vcc, v21, v22, vcc
	global_load_dwordx4 v[115:118], v[76:77], off offset:512
	global_load_dwordx4 v[111:114], v[74:75], off offset:1536
	global_load_dwordx4 v[64:67], v[20:21], off
	global_load_dwordx4 v[104:107], v[68:69], off offset:2816
	v_add_co_u32_e32 v20, vcc, s26, v20
	v_mov_b32_e32 v22, s7
	v_addc_co_u32_e32 v21, vcc, v21, v22, vcc
	global_load_dwordx4 v[68:71], v[20:21], off
	global_load_dwordx4 v[100:103], v[78:79], off offset:3840
	v_add_co_u32_e32 v78, vcc, s26, v20
	v_mov_b32_e32 v20, s7
	v_addc_co_u32_e32 v79, vcc, v21, v20, vcc
	;; [unrolled: 5-line block ×3, first 2 shown]
	s_mov_b32 s25, 0x8000
	v_add_co_u32_e32 v78, vcc, s25, v80
	v_addc_co_u32_e32 v79, vcc, 0, v81, vcc
	global_load_dwordx4 v[88:91], v[72:73], off
	global_load_dwordx4 v[161:164], v[78:79], off offset:1792
	v_add_co_u32_e32 v72, vcc, s26, v72
	v_mov_b32_e32 v78, s7
	v_addc_co_u32_e32 v73, vcc, v73, v78, vcc
	global_load_dwordx4 v[78:81], v[72:73], off
	global_load_dwordx4 v[96:99], v[76:77], off offset:2816
	v_add_co_u32_e32 v72, vcc, s26, v72
	v_mov_b32_e32 v76, s7
	v_addc_co_u32_e32 v73, vcc, v73, v76, vcc
	global_load_dwordx4 v[92:95], v[72:73], off
	s_nop 0
	global_load_dwordx4 v[72:75], v[74:75], off offset:3840
	ds_write_b128 v110, v[4:7] offset:27648
	ds_write_b128 v110, v[8:11] offset:36864
	;; [unrolled: 1-line block ×3, first 2 shown]
	s_waitcnt vmcnt(32)
	buffer_store_dword v82, off, s[36:39], 0 offset:380 ; 4-byte Folded Spill
	s_nop 0
	buffer_store_dword v83, off, s[36:39], 0 offset:384 ; 4-byte Folded Spill
	buffer_store_dword v84, off, s[36:39], 0 offset:388 ; 4-byte Folded Spill
	;; [unrolled: 1-line block ×3, first 2 shown]
	ds_write_b128 v110, v[0:3] offset:2304
	s_waitcnt vmcnt(34)
	buffer_store_dword v149, off, s[36:39], 0 offset:356 ; 4-byte Folded Spill
	s_nop 0
	buffer_store_dword v150, off, s[36:39], 0 offset:360 ; 4-byte Folded Spill
	buffer_store_dword v151, off, s[36:39], 0 offset:364 ; 4-byte Folded Spill
	buffer_store_dword v152, off, s[36:39], 0 offset:368 ; 4-byte Folded Spill
	s_waitcnt vmcnt(37)
	buffer_store_dword v145, off, s[36:39], 0 offset:340 ; 4-byte Folded Spill
	s_nop 0
	buffer_store_dword v146, off, s[36:39], 0 offset:344 ; 4-byte Folded Spill
	buffer_store_dword v147, off, s[36:39], 0 offset:348 ; 4-byte Folded Spill
	buffer_store_dword v148, off, s[36:39], 0 offset:352 ; 4-byte Folded Spill
	;; [unrolled: 6-line block ×5, first 2 shown]
	s_movk_i32 s26, 0xab
	s_mov_b32 s27, 0xaaab
	v_mul_f64 v[4:5], v[14:15], v[84:85]
	v_mul_f64 v[6:7], v[12:13], v[84:85]
	;; [unrolled: 1-line block ×6, first 2 shown]
	v_add_co_u32_e32 v84, vcc, s6, v124
	v_fma_f64 v[0:1], v[12:13], v[82:83], v[4:5]
	v_fma_f64 v[2:3], v[14:15], v[82:83], -v[6:7]
	v_fma_f64 v[4:5], v[24:25], v[149:150], v[8:9]
	v_fma_f64 v[8:9], v[28:29], v[145:146], v[16:17]
	v_mul_f64 v[16:17], v[38:39], v[139:140]
	v_mul_f64 v[24:25], v[36:37], v[139:140]
	;; [unrolled: 1-line block ×4, first 2 shown]
	v_fma_f64 v[6:7], v[26:27], v[149:150], -v[10:11]
	ds_write_b128 v110, v[0:3] offset:11520
	v_mul_f64 v[26:27], v[40:41], v[135:136]
	s_movk_i32 s6, 0x120
	v_fma_f64 v[0:1], v[36:37], v[137:138], v[16:17]
	v_fma_f64 v[2:3], v[38:39], v[137:138], -v[24:25]
	v_fma_f64 v[10:11], v[30:31], v[145:146], -v[12:13]
	v_fma_f64 v[12:13], v[32:33], v[141:142], v[14:15]
	v_fma_f64 v[14:15], v[34:35], v[141:142], -v[18:19]
	ds_write_b128 v110, v[4:7] offset:20736
	ds_write_b128 v110, v[8:11] offset:29952
	;; [unrolled: 1-line block ×3, first 2 shown]
	s_waitcnt vmcnt(44)
	buffer_store_dword v129, off, s[36:39], 0 offset:276 ; 4-byte Folded Spill
	s_nop 0
	buffer_store_dword v130, off, s[36:39], 0 offset:280 ; 4-byte Folded Spill
	buffer_store_dword v131, off, s[36:39], 0 offset:284 ; 4-byte Folded Spill
	;; [unrolled: 1-line block ×3, first 2 shown]
	ds_write_b128 v110, v[0:3] offset:48384
	s_waitcnt vmcnt(46)
	buffer_store_dword v125, off, s[36:39], 0 offset:244 ; 4-byte Folded Spill
	s_nop 0
	buffer_store_dword v126, off, s[36:39], 0 offset:248 ; 4-byte Folded Spill
	buffer_store_dword v127, off, s[36:39], 0 offset:252 ; 4-byte Folded Spill
	;; [unrolled: 1-line block ×3, first 2 shown]
	v_mul_f64 v[18:19], v[42:43], v[135:136]
	v_fma_f64 v[6:7], v[42:43], v[133:134], -v[26:27]
	s_waitcnt vmcnt(32)
	v_mul_f64 v[24:25], v[94:95], v[74:75]
	v_mul_f64 v[26:27], v[92:93], v[74:75]
	v_add_co_u32_e32 v87, vcc, s6, v124
	s_movk_i32 s6, 0x1b0
	v_add_co_u32_e32 v85, vcc, s6, v124
	v_fma_f64 v[4:5], v[40:41], v[133:134], v[18:19]
	s_mov_b32 s6, 0xe8584caa
	s_mov_b32 s7, 0x3febb67a
	;; [unrolled: 1-line block ×3, first 2 shown]
	ds_write_b128 v110, v[4:7] offset:4608
	buffer_store_dword v119, off, s[36:39], 0 offset:212 ; 4-byte Folded Spill
	s_nop 0
	buffer_store_dword v120, off, s[36:39], 0 offset:216 ; 4-byte Folded Spill
	buffer_store_dword v121, off, s[36:39], 0 offset:220 ; 4-byte Folded Spill
	buffer_store_dword v122, off, s[36:39], 0 offset:224 ; 4-byte Folded Spill
	buffer_store_dword v115, off, s[36:39], 0 offset:196 ; 4-byte Folded Spill
	s_nop 0
	buffer_store_dword v116, off, s[36:39], 0 offset:200 ; 4-byte Folded Spill
	buffer_store_dword v117, off, s[36:39], 0 offset:204 ; 4-byte Folded Spill
	buffer_store_dword v118, off, s[36:39], 0 offset:208 ; 4-byte Folded Spill
	;; [unrolled: 5-line block ×3, first 2 shown]
	v_mul_f64 v[8:9], v[46:47], v[131:132]
	v_mul_f64 v[10:11], v[44:45], v[131:132]
	;; [unrolled: 1-line block ×4, first 2 shown]
	v_fma_f64 v[0:1], v[44:45], v[129:130], v[8:9]
	v_fma_f64 v[2:3], v[46:47], v[129:130], -v[10:11]
	v_fma_f64 v[4:5], v[48:49], v[125:126], v[12:13]
	v_fma_f64 v[6:7], v[50:51], v[125:126], -v[6:7]
	ds_write_b128 v110, v[0:3] offset:13824
	ds_write_b128 v110, v[4:7] offset:23040
	buffer_store_dword v104, off, s[36:39], 0 offset:164 ; 4-byte Folded Spill
	s_nop 0
	buffer_store_dword v105, off, s[36:39], 0 offset:168 ; 4-byte Folded Spill
	buffer_store_dword v106, off, s[36:39], 0 offset:172 ; 4-byte Folded Spill
	;; [unrolled: 1-line block ×4, first 2 shown]
	s_nop 0
	buffer_store_dword v101, off, s[36:39], 0 offset:152 ; 4-byte Folded Spill
	buffer_store_dword v102, off, s[36:39], 0 offset:156 ; 4-byte Folded Spill
	;; [unrolled: 1-line block ×3, first 2 shown]
	v_mul_f64 v[8:9], v[54:55], v[121:122]
	v_mul_f64 v[10:11], v[52:53], v[121:122]
	;; [unrolled: 1-line block ×6, first 2 shown]
	v_fma_f64 v[0:1], v[52:53], v[119:120], v[8:9]
	v_fma_f64 v[2:3], v[54:55], v[119:120], -v[10:11]
	v_fma_f64 v[8:9], v[56:57], v[115:116], v[12:13]
	v_fma_f64 v[10:11], v[58:59], v[115:116], -v[14:15]
	;; [unrolled: 2-line block ×3, first 2 shown]
	ds_write_b128 v110, v[0:3] offset:32256
	ds_write_b128 v110, v[8:11] offset:41472
	;; [unrolled: 1-line block ×3, first 2 shown]
	v_mul_f64 v[8:9], v[22:23], v[159:160]
	v_mul_f64 v[10:11], v[20:21], v[159:160]
	buffer_store_dword v72, off, s[36:39], 0 ; 4-byte Folded Spill
	s_nop 0
	buffer_store_dword v73, off, s[36:39], 0 offset:4 ; 4-byte Folded Spill
	buffer_store_dword v74, off, s[36:39], 0 offset:8 ; 4-byte Folded Spill
	;; [unrolled: 1-line block ×4, first 2 shown]
	s_nop 0
	buffer_store_dword v158, off, s[36:39], 0 offset:264 ; 4-byte Folded Spill
	buffer_store_dword v159, off, s[36:39], 0 offset:268 ; 4-byte Folded Spill
	;; [unrolled: 1-line block ×3, first 2 shown]
	v_mul_f64 v[12:13], v[90:91], v[163:164]
	v_mul_f64 v[14:15], v[88:89], v[163:164]
	buffer_store_dword v161, off, s[36:39], 0 offset:228 ; 4-byte Folded Spill
	s_nop 0
	buffer_store_dword v162, off, s[36:39], 0 offset:232 ; 4-byte Folded Spill
	buffer_store_dword v163, off, s[36:39], 0 offset:236 ; 4-byte Folded Spill
	;; [unrolled: 1-line block ×3, first 2 shown]
	v_mul_f64 v[4:5], v[66:67], v[106:107]
	v_mul_f64 v[6:7], v[64:65], v[106:107]
	;; [unrolled: 1-line block ×4, first 2 shown]
	v_fma_f64 v[0:1], v[64:65], v[104:105], v[4:5]
	v_fma_f64 v[2:3], v[66:67], v[104:105], -v[6:7]
	v_fma_f64 v[4:5], v[68:69], v[100:101], v[16:17]
	v_fma_f64 v[6:7], v[70:71], v[100:101], -v[18:19]
	v_mul_f64 v[16:17], v[80:81], v[98:99]
	v_mul_f64 v[18:19], v[78:79], v[98:99]
	buffer_store_dword v96, off, s[36:39], 0 offset:116 ; 4-byte Folded Spill
	s_nop 0
	buffer_store_dword v97, off, s[36:39], 0 offset:120 ; 4-byte Folded Spill
	buffer_store_dword v98, off, s[36:39], 0 offset:124 ; 4-byte Folded Spill
	;; [unrolled: 1-line block ×3, first 2 shown]
	v_fma_f64 v[8:9], v[20:21], v[157:158], v[8:9]
	v_fma_f64 v[10:11], v[22:23], v[157:158], -v[10:11]
	v_fma_f64 v[20:21], v[92:93], v[72:73], v[24:25]
	v_fma_f64 v[12:13], v[88:89], v[161:162], v[12:13]
	v_fma_f64 v[14:15], v[90:91], v[161:162], -v[14:15]
	v_fma_f64 v[22:23], v[94:95], v[72:73], -v[26:27]
	v_fma_f64 v[16:17], v[78:79], v[96:97], v[16:17]
	v_fma_f64 v[18:19], v[80:81], v[96:97], -v[18:19]
	ds_write_b128 v110, v[0:3] offset:6912
	ds_write_b128 v110, v[4:7] offset:16128
	;; [unrolled: 1-line block ×6, first 2 shown]
	s_waitcnt vmcnt(0) lgkmcnt(0)
	s_barrier
	ds_read_b128 v[16:19], v110
	ds_read_b128 v[20:23], v110 offset:9216
	ds_read_b128 v[28:31], v110 offset:18432
	;; [unrolled: 1-line block ×18, first 2 shown]
	s_waitcnt lgkmcnt(14)
	v_add_f64 v[68:69], v[28:29], v[60:61]
	s_waitcnt lgkmcnt(13)
	v_add_f64 v[100:101], v[56:57], v[64:65]
	v_add_f64 v[102:103], v[58:59], v[66:67]
	;; [unrolled: 1-line block ×3, first 2 shown]
	v_add_f64 v[104:105], v[58:59], -v[66:67]
	v_add_f64 v[106:107], v[56:57], -v[64:65]
	v_add_f64 v[111:112], v[30:31], v[62:63]
	v_add_f64 v[28:29], v[28:29], -v[60:61]
	v_fma_f64 v[16:17], v[68:69], -0.5, v[16:17]
	v_add_f64 v[68:69], v[30:31], -v[62:63]
	v_fma_f64 v[100:101], v[100:101], -0.5, v[20:21]
	v_fma_f64 v[102:103], v[102:103], -0.5, v[22:23]
	v_add_f64 v[82:83], v[82:83], v[60:61]
	v_add_f64 v[30:31], v[18:19], v[30:31]
	;; [unrolled: 1-line block ×3, first 2 shown]
	v_fma_f64 v[18:19], v[111:112], -0.5, v[18:19]
	v_add_f64 v[22:23], v[22:23], v[58:59]
	v_fma_f64 v[108:109], v[68:69], s[6:7], v[16:17]
	v_fma_f64 v[113:114], v[68:69], s[8:9], v[16:17]
	;; [unrolled: 1-line block ×6, first 2 shown]
	v_add_f64 v[62:63], v[30:31], v[62:63]
	v_add_f64 v[64:65], v[20:21], v[64:65]
	s_waitcnt lgkmcnt(8)
	v_add_f64 v[115:116], v[78:79], v[92:93]
	s_waitcnt lgkmcnt(7)
	v_add_f64 v[117:118], v[88:89], v[96:97]
	v_mul_f64 v[56:57], v[16:17], s[6:7]
	v_mul_f64 v[60:61], v[68:69], -0.5
	v_mul_f64 v[58:59], v[100:101], s[8:9]
	v_mul_f64 v[30:31], v[102:103], -0.5
	v_add_f64 v[119:120], v[90:91], v[98:99]
	v_fma_f64 v[104:105], v[28:29], s[8:9], v[18:19]
	v_add_f64 v[66:67], v[22:23], v[66:67]
	v_fma_f64 v[106:107], v[28:29], s[6:7], v[18:19]
	v_fma_f64 v[100:101], v[100:101], 0.5, v[56:57]
	v_fma_f64 v[60:61], v[102:103], s[6:7], v[60:61]
	v_fma_f64 v[102:103], v[16:17], 0.5, v[58:59]
	v_fma_f64 v[111:112], v[68:69], s[8:9], v[30:31]
	v_add_f64 v[28:29], v[82:83], v[64:65]
	v_add_f64 v[68:69], v[82:83], -v[64:65]
	v_add_f64 v[82:83], v[70:71], v[78:79]
	v_add_f64 v[30:31], v[62:63], v[66:67]
	v_add_f64 v[20:21], v[108:109], v[100:101]
	v_add_f64 v[16:17], v[113:114], v[60:61]
	v_add_f64 v[64:65], v[108:109], -v[100:101]
	v_add_f64 v[60:61], v[113:114], -v[60:61]
	v_fma_f64 v[100:101], v[115:116], -0.5, v[70:71]
	v_add_f64 v[108:109], v[80:81], -v[94:95]
	v_fma_f64 v[113:114], v[117:118], -0.5, v[74:75]
	v_fma_f64 v[115:116], v[119:120], -0.5, v[76:77]
	v_add_f64 v[117:118], v[88:89], -v[96:97]
	v_add_f64 v[119:120], v[90:91], -v[98:99]
	v_add_f64 v[22:23], v[104:105], v[102:103]
	v_add_f64 v[70:71], v[62:63], -v[66:67]
	v_add_f64 v[66:67], v[104:105], -v[102:103]
	v_add_f64 v[62:63], v[80:81], v[94:95]
	v_add_f64 v[102:103], v[82:83], v[92:93]
	v_fma_f64 v[104:105], v[108:109], s[6:7], v[100:101]
	v_fma_f64 v[100:101], v[108:109], s[8:9], v[100:101]
	;; [unrolled: 1-line block ×5, first 2 shown]
	v_add_f64 v[80:81], v[72:73], v[80:81]
	v_fma_f64 v[62:63], v[62:63], -0.5, v[72:73]
	v_fma_f64 v[72:73], v[117:118], s[6:7], v[115:116]
	v_add_f64 v[78:79], v[78:79], -v[92:93]
	v_add_f64 v[74:75], v[74:75], v[88:89]
	v_mul_f64 v[88:89], v[82:83], s[6:7]
	v_mul_f64 v[92:93], v[108:109], -0.5
	v_add_f64 v[76:77], v[76:77], v[90:91]
	v_mul_f64 v[90:91], v[113:114], s[8:9]
	v_add_f64 v[18:19], v[106:107], v[111:112]
	v_add_f64 v[94:95], v[80:81], v[94:95]
	v_mul_f64 v[80:81], v[72:73], -0.5
	v_fma_f64 v[115:116], v[78:79], s[8:9], v[62:63]
	v_add_f64 v[96:97], v[74:75], v[96:97]
	v_fma_f64 v[113:114], v[113:114], 0.5, v[88:89]
	v_fma_f64 v[117:118], v[72:73], s[6:7], v[92:93]
	v_add_f64 v[98:99], v[76:77], v[98:99]
	v_fma_f64 v[119:120], v[82:83], 0.5, v[90:91]
	v_fma_f64 v[121:122], v[78:79], s[6:7], v[62:63]
	v_add_f64 v[62:63], v[106:107], -v[111:112]
	s_waitcnt lgkmcnt(2)
	v_add_f64 v[90:91], v[52:53], v[44:45]
	s_waitcnt lgkmcnt(1)
	v_add_f64 v[106:107], v[48:49], v[32:33]
	v_add_f64 v[111:112], v[50:51], v[34:35]
	v_fma_f64 v[108:109], v[108:109], s[8:9], v[80:81]
	v_add_f64 v[72:73], v[102:103], v[96:97]
	v_add_f64 v[76:77], v[104:105], v[113:114]
	;; [unrolled: 1-line block ×4, first 2 shown]
	v_add_f64 v[88:89], v[102:103], -v[96:97]
	v_add_f64 v[92:93], v[104:105], -v[113:114]
	;; [unrolled: 1-line block ×3, first 2 shown]
	v_add_f64 v[100:101], v[40:41], v[52:53]
	v_fma_f64 v[40:41], v[90:91], -0.5, v[40:41]
	v_add_f64 v[102:103], v[54:55], -v[46:47]
	v_fma_f64 v[104:105], v[106:107], -0.5, v[24:25]
	v_fma_f64 v[106:107], v[111:112], -0.5, v[26:27]
	v_add_f64 v[111:112], v[48:49], -v[32:33]
	v_add_f64 v[113:114], v[50:51], -v[34:35]
	;; [unrolled: 1-line block ×3, first 2 shown]
	v_add_f64 v[98:99], v[54:55], v[46:47]
	v_add_f64 v[78:79], v[115:116], v[119:120]
	v_add_f64 v[94:95], v[115:116], -v[119:120]
	v_fma_f64 v[115:116], v[102:103], s[6:7], v[40:41]
	v_fma_f64 v[102:103], v[102:103], s[8:9], v[40:41]
	;; [unrolled: 1-line block ×4, first 2 shown]
	v_add_f64 v[54:55], v[42:43], v[54:55]
	v_fma_f64 v[42:43], v[98:99], -0.5, v[42:43]
	v_fma_f64 v[98:99], v[111:112], s[6:7], v[106:107]
	v_add_f64 v[100:101], v[100:101], v[44:45]
	v_fma_f64 v[104:105], v[113:114], s[6:7], v[104:105]
	v_add_f64 v[44:45], v[52:53], -v[44:45]
	v_add_f64 v[24:25], v[24:25], v[48:49]
	v_mul_f64 v[48:49], v[40:41], s[6:7]
	v_mul_f64 v[52:53], v[117:118], -0.5
	v_add_f64 v[46:47], v[54:55], v[46:47]
	v_mul_f64 v[54:55], v[98:99], -0.5
	ds_read_b128 v[4:7], v110 offset:16128
	ds_read_b128 v[12:15], v110 offset:25344
	;; [unrolled: 1-line block ×5, first 2 shown]
	v_add_f64 v[82:83], v[121:122], v[108:109]
	v_add_f64 v[26:27], v[26:27], v[50:51]
	v_mul_f64 v[50:51], v[104:105], s[8:9]
	v_add_f64 v[111:112], v[24:25], v[32:33]
	v_fma_f64 v[48:49], v[104:105], 0.5, v[48:49]
	v_fma_f64 v[52:53], v[98:99], s[6:7], v[52:53]
	v_fma_f64 v[54:55], v[117:118], s[8:9], v[54:55]
	v_add_f64 v[98:99], v[121:122], -v[108:109]
	s_waitcnt lgkmcnt(1)
	v_add_f64 v[108:109], v[12:13], v[36:37]
	s_waitcnt lgkmcnt(0)
	v_add_f64 v[117:118], v[8:9], v[56:57]
	v_add_f64 v[119:120], v[10:11], v[58:59]
	v_fma_f64 v[106:107], v[44:45], s[8:9], v[42:43]
	v_add_f64 v[104:105], v[26:27], v[34:35]
	v_fma_f64 v[50:51], v[40:41], 0.5, v[50:51]
	v_fma_f64 v[113:114], v[44:45], s[6:7], v[42:43]
	v_add_f64 v[24:25], v[100:101], v[111:112]
	v_add_f64 v[32:33], v[115:116], v[48:49]
	;; [unrolled: 1-line block ×3, first 2 shown]
	v_add_f64 v[44:45], v[100:101], -v[111:112]
	v_add_f64 v[48:49], v[115:116], -v[48:49]
	;; [unrolled: 1-line block ×3, first 2 shown]
	v_add_f64 v[100:101], v[0:1], v[12:13]
	v_fma_f64 v[0:1], v[108:109], -0.5, v[0:1]
	v_add_f64 v[102:103], v[14:15], -v[38:39]
	v_fma_f64 v[108:109], v[117:118], -0.5, v[4:5]
	v_fma_f64 v[111:112], v[119:120], -0.5, v[6:7]
	v_add_f64 v[115:116], v[8:9], -v[56:57]
	v_add_f64 v[117:118], v[10:11], -v[58:59]
	v_add_f64 v[119:120], v[14:15], v[38:39]
	v_add_f64 v[26:27], v[46:47], v[104:105]
	v_add_f64 v[46:47], v[46:47], -v[104:105]
	v_fma_f64 v[104:105], v[102:103], s[6:7], v[0:1]
	v_fma_f64 v[102:103], v[102:103], s[8:9], v[0:1]
	v_add_f64 v[14:15], v[2:3], v[14:15]
	v_fma_f64 v[0:1], v[115:116], s[8:9], v[111:112]
	v_fma_f64 v[121:122], v[117:118], s[8:9], v[108:109]
	;; [unrolled: 1-line block ×4, first 2 shown]
	v_fma_f64 v[2:3], v[119:120], -0.5, v[2:3]
	v_add_f64 v[12:13], v[12:13], -v[36:37]
	v_add_f64 v[4:5], v[4:5], v[8:9]
	v_add_f64 v[6:7], v[6:7], v[10:11]
	;; [unrolled: 1-line block ×3, first 2 shown]
	v_mul_f64 v[8:9], v[0:1], s[6:7]
	v_mul_f64 v[36:37], v[121:122], -0.5
	v_mul_f64 v[10:11], v[108:109], s[8:9]
	v_add_f64 v[14:15], v[14:15], v[38:39]
	v_mul_f64 v[38:39], v[111:112], -0.5
	v_fma_f64 v[115:116], v[12:13], s[8:9], v[2:3]
	v_fma_f64 v[117:118], v[12:13], s[6:7], v[2:3]
	v_add_f64 v[12:13], v[4:5], v[56:57]
	v_add_f64 v[58:59], v[6:7], v[58:59]
	v_fma_f64 v[56:57], v[108:109], 0.5, v[8:9]
	v_fma_f64 v[108:109], v[111:112], s[6:7], v[36:37]
	v_fma_f64 v[111:112], v[0:1], 0.5, v[10:11]
	v_fma_f64 v[119:120], v[121:122], s[8:9], v[38:39]
	v_add_f64 v[34:35], v[106:107], v[50:51]
	v_add_f64 v[42:43], v[113:114], v[54:55]
	;; [unrolled: 1-line block ×5, first 2 shown]
	v_add_f64 v[50:51], v[106:107], -v[50:51]
	v_add_f64 v[6:7], v[115:116], v[111:112]
	v_add_f64 v[8:9], v[102:103], v[108:109]
	v_add_f64 v[10:11], v[117:118], v[119:120]
	s_barrier
	buffer_store_dword v86, off, s[36:39], 0 offset:416 ; 4-byte Folded Spill
	ds_write_b128 v86, v[28:31]
	ds_write_b128 v86, v[20:23] offset:16
	ds_write_b128 v86, v[16:19] offset:32
	;; [unrolled: 1-line block ×5, first 2 shown]
	v_mul_u32_u24_e32 v16, 6, v84
	v_add_f64 v[54:55], v[113:114], -v[54:55]
	v_add_f64 v[12:13], v[100:101], -v[12:13]
	;; [unrolled: 1-line block ×3, first 2 shown]
	v_lshlrev_b32_e32 v16, 4, v16
	v_add_f64 v[36:37], v[104:105], -v[56:57]
	v_add_f64 v[38:39], v[115:116], -v[111:112]
	buffer_store_dword v16, off, s[36:39], 0 offset:412 ; 4-byte Folded Spill
	ds_write_b128 v16, v[72:75]
	ds_write_b128 v16, v[76:79] offset:16
	ds_write_b128 v16, v[80:83] offset:32
	;; [unrolled: 1-line block ×5, first 2 shown]
	v_mul_u32_u24_e32 v16, 6, v87
	v_add_f64 v[56:57], v[102:103], -v[108:109]
	v_add_f64 v[58:59], v[117:118], -v[119:120]
	v_lshlrev_b32_e32 v16, 4, v16
	buffer_store_dword v16, off, s[36:39], 0 offset:404 ; 4-byte Folded Spill
	ds_write_b128 v16, v[24:27]
	ds_write_b128 v16, v[32:35] offset:16
	ds_write_b128 v16, v[40:43] offset:32
	;; [unrolled: 1-line block ×5, first 2 shown]
	v_mul_u32_u24_e32 v16, 6, v85
	v_lshlrev_b32_e32 v16, 4, v16
	buffer_store_dword v16, off, s[36:39], 0 offset:400 ; 4-byte Folded Spill
	ds_write_b128 v16, v[0:3]
	ds_write_b128 v16, v[4:7] offset:16
	ds_write_b128 v16, v[8:11] offset:32
	;; [unrolled: 1-line block ×5, first 2 shown]
	v_mul_lo_u16_sdwa v0, v124, s26 dst_sel:DWORD dst_unused:UNUSED_PAD src0_sel:BYTE_0 src1_sel:DWORD
	v_lshrrev_b16_e32 v70, 10, v0
	v_mul_lo_u16_e32 v0, 6, v70
	v_sub_u16_e32 v0, v124, v0
	v_mov_b32_e32 v29, s11
	v_and_b32_e32 v71, 0xff, v0
	s_movk_i32 s26, 0x50
	v_mov_b32_e32 v28, s10
	v_mad_u64_u32 v[0:1], s[28:29], v71, s26, v[28:29]
	s_waitcnt vmcnt(0) lgkmcnt(0)
	s_barrier
	global_load_dwordx4 v[98:101], v[0:1], off
	global_load_dwordx4 v[94:97], v[0:1], off offset:16
	global_load_dwordx4 v[64:67], v[0:1], off offset:48
	global_load_dwordx4 v[90:93], v[0:1], off offset:32
	global_load_dwordx4 v[102:105], v[0:1], off offset:64
	v_mul_u32_u24_sdwa v0, v84, s27 dst_sel:DWORD dst_unused:UNUSED_PAD src0_sel:WORD_0 src1_sel:DWORD
	v_lshrrev_b32_e32 v72, 18, v0
	v_mul_lo_u16_e32 v0, 6, v72
	v_sub_u16_e32 v73, v84, v0
	v_mul_lo_u16_e32 v0, 0x50, v73
	v_add_co_u32_e32 v0, vcc, s10, v0
	v_mov_b32_e32 v86, s11
	v_addc_co_u32_e32 v1, vcc, 0, v86, vcc
	global_load_dwordx4 v[119:122], v[0:1], off
	global_load_dwordx4 v[115:118], v[0:1], off offset:16
	global_load_dwordx4 v[106:109], v[0:1], off offset:48
	;; [unrolled: 1-line block ×4, first 2 shown]
	v_mul_u32_u24_sdwa v0, v87, s27 dst_sel:DWORD dst_unused:UNUSED_PAD src0_sel:WORD_0 src1_sel:DWORD
	v_lshrrev_b32_e32 v74, 18, v0
	v_mul_lo_u16_e32 v0, 6, v74
	v_sub_u16_e32 v75, v87, v0
	v_mul_lo_u16_e32 v0, 0x50, v75
	v_add_co_u32_e32 v0, vcc, s10, v0
	v_addc_co_u32_e32 v1, vcc, 0, v86, vcc
	global_load_dwordx4 v[141:144], v[0:1], off
	global_load_dwordx4 v[137:140], v[0:1], off offset:16
	global_load_dwordx4 v[133:136], v[0:1], off offset:32
	;; [unrolled: 1-line block ×4, first 2 shown]
	ds_read_b128 v[0:3], v110 offset:9216
	ds_read_b128 v[4:7], v110 offset:18432
	ds_read_b128 v[8:11], v110 offset:27648
	ds_read_b128 v[12:15], v110 offset:36864
	ds_read_b128 v[16:19], v110 offset:46080
	ds_read_b128 v[20:23], v110 offset:11520
	ds_read_b128 v[24:27], v110 offset:20736
	ds_read_b128 v[30:33], v110 offset:29952
	ds_read_b128 v[34:37], v110 offset:39168
	s_waitcnt vmcnt(14)
	buffer_store_dword v98, off, s[36:39], 0 offset:648 ; 4-byte Folded Spill
	s_nop 0
	buffer_store_dword v99, off, s[36:39], 0 offset:652 ; 4-byte Folded Spill
	buffer_store_dword v100, off, s[36:39], 0 offset:656 ; 4-byte Folded Spill
	;; [unrolled: 1-line block ×3, first 2 shown]
	ds_read_b128 v[38:41], v110 offset:48384
	ds_read_b128 v[42:45], v110 offset:13824
	s_waitcnt vmcnt(17)
	buffer_store_dword v94, off, s[36:39], 0 offset:632 ; 4-byte Folded Spill
	s_nop 0
	buffer_store_dword v95, off, s[36:39], 0 offset:636 ; 4-byte Folded Spill
	buffer_store_dword v96, off, s[36:39], 0 offset:640 ; 4-byte Folded Spill
	;; [unrolled: 1-line block ×3, first 2 shown]
	ds_read_b128 v[46:49], v110 offset:23040
	ds_read_b128 v[60:63], v110 offset:32256
	s_waitcnt vmcnt(19)
	buffer_store_dword v90, off, s[36:39], 0 offset:616 ; 4-byte Folded Spill
	s_nop 0
	buffer_store_dword v91, off, s[36:39], 0 offset:620 ; 4-byte Folded Spill
	buffer_store_dword v92, off, s[36:39], 0 offset:624 ; 4-byte Folded Spill
	;; [unrolled: 1-line block ×4, first 2 shown]
	s_nop 0
	buffer_store_dword v65, off, s[36:39], 0 offset:604 ; 4-byte Folded Spill
	buffer_store_dword v66, off, s[36:39], 0 offset:608 ; 4-byte Folded Spill
	buffer_store_dword v67, off, s[36:39], 0 offset:612 ; 4-byte Folded Spill
	s_waitcnt vmcnt(26)
	buffer_store_dword v102, off, s[36:39], 0 offset:584 ; 4-byte Folded Spill
	s_nop 0
	buffer_store_dword v103, off, s[36:39], 0 offset:588 ; 4-byte Folded Spill
	buffer_store_dword v104, off, s[36:39], 0 offset:592 ; 4-byte Folded Spill
	buffer_store_dword v105, off, s[36:39], 0 offset:596 ; 4-byte Folded Spill
	s_waitcnt vmcnt(29)
	buffer_store_dword v119, off, s[36:39], 0 offset:568 ; 4-byte Folded Spill
	;; [unrolled: 6-line block ×4, first 2 shown]
	s_nop 0
	buffer_store_dword v112, off, s[36:39], 0 offset:540 ; 4-byte Folded Spill
	buffer_store_dword v113, off, s[36:39], 0 offset:544 ; 4-byte Folded Spill
	;; [unrolled: 1-line block ×4, first 2 shown]
	s_nop 0
	buffer_store_dword v107, off, s[36:39], 0 offset:524 ; 4-byte Folded Spill
	buffer_store_dword v108, off, s[36:39], 0 offset:528 ; 4-byte Folded Spill
	buffer_store_dword v109, off, s[36:39], 0 offset:532 ; 4-byte Folded Spill
	s_waitcnt vmcnt(41)
	buffer_store_dword v125, off, s[36:39], 0 offset:504 ; 4-byte Folded Spill
	s_nop 0
	buffer_store_dword v126, off, s[36:39], 0 offset:508 ; 4-byte Folded Spill
	buffer_store_dword v127, off, s[36:39], 0 offset:512 ; 4-byte Folded Spill
	buffer_store_dword v128, off, s[36:39], 0 offset:516 ; 4-byte Folded Spill
	s_waitcnt vmcnt(44)
	buffer_store_dword v141, off, s[36:39], 0 offset:488 ; 4-byte Folded Spill
	;; [unrolled: 6-line block ×3, first 2 shown]
	s_nop 0
	buffer_store_dword v138, off, s[36:39], 0 offset:476 ; 4-byte Folded Spill
	buffer_store_dword v139, off, s[36:39], 0 offset:480 ; 4-byte Folded Spill
	;; [unrolled: 1-line block ×3, first 2 shown]
	s_waitcnt lgkmcnt(12)
	v_mul_f64 v[50:51], v[2:3], v[100:101]
	v_mul_f64 v[52:53], v[0:1], v[100:101]
	s_waitcnt lgkmcnt(11)
	v_mul_f64 v[54:55], v[6:7], v[96:97]
	v_mul_f64 v[56:57], v[4:5], v[96:97]
	v_fma_f64 v[78:79], v[0:1], v[98:99], -v[50:51]
	s_waitcnt lgkmcnt(10)
	v_mul_f64 v[0:1], v[10:11], v[92:93]
	v_fma_f64 v[80:81], v[2:3], v[98:99], v[52:53]
	s_waitcnt lgkmcnt(9)
	v_mul_f64 v[2:3], v[14:15], v[66:67]
	v_mul_f64 v[50:51], v[8:9], v[92:93]
	v_fma_f64 v[82:83], v[4:5], v[94:95], -v[54:55]
	v_mul_f64 v[4:5], v[12:13], v[66:67]
	v_fma_f64 v[88:89], v[6:7], v[94:95], v[56:57]
	s_waitcnt lgkmcnt(8)
	v_mul_f64 v[6:7], v[18:19], v[104:105]
	v_fma_f64 v[8:9], v[8:9], v[90:91], -v[0:1]
	v_mul_f64 v[0:1], v[16:17], v[104:105]
	v_fma_f64 v[12:13], v[12:13], v[64:65], -v[2:3]
	s_waitcnt lgkmcnt(6)
	v_mul_f64 v[2:3], v[26:27], v[117:118]
	v_fma_f64 v[10:11], v[10:11], v[90:91], v[50:51]
	v_mul_f64 v[50:51], v[22:23], v[121:122]
	v_fma_f64 v[14:15], v[14:15], v[64:65], v[4:5]
	v_fma_f64 v[16:17], v[16:17], v[102:103], -v[6:7]
	v_mul_f64 v[4:5], v[24:25], v[117:118]
	v_fma_f64 v[18:19], v[18:19], v[102:103], v[0:1]
	s_waitcnt lgkmcnt(5)
	v_mul_f64 v[0:1], v[32:33], v[113:114]
	v_fma_f64 v[94:95], v[24:25], v[115:116], -v[2:3]
	s_waitcnt lgkmcnt(4)
	v_mul_f64 v[2:3], v[34:35], v[108:109]
	v_mul_f64 v[6:7], v[30:31], v[113:114]
	;; [unrolled: 1-line block ×3, first 2 shown]
	v_fma_f64 v[90:91], v[20:21], v[119:120], -v[50:51]
	v_mul_f64 v[20:21], v[36:37], v[108:109]
	v_fma_f64 v[96:97], v[26:27], v[115:116], v[4:5]
	v_fma_f64 v[98:99], v[30:31], v[111:112], -v[0:1]
	s_waitcnt lgkmcnt(3)
	v_mul_f64 v[4:5], v[40:41], v[127:128]
	v_fma_f64 v[104:105], v[36:37], v[106:107], v[2:3]
	ds_read_b128 v[0:3], v110 offset:41472
	s_waitcnt vmcnt(50)
	buffer_store_dword v133, off, s[36:39], 0 offset:452 ; 4-byte Folded Spill
	s_nop 0
	buffer_store_dword v134, off, s[36:39], 0 offset:456 ; 4-byte Folded Spill
	buffer_store_dword v135, off, s[36:39], 0 offset:460 ; 4-byte Folded Spill
	;; [unrolled: 1-line block ×3, first 2 shown]
	v_fma_f64 v[100:101], v[32:33], v[111:112], v[6:7]
	s_waitcnt lgkmcnt(3)
	v_mul_f64 v[6:7], v[44:45], v[143:144]
	v_fma_f64 v[102:103], v[34:35], v[106:107], -v[20:21]
	v_mul_f64 v[20:21], v[42:43], v[143:144]
	v_fma_f64 v[106:107], v[38:39], v[125:126], -v[4:5]
	s_waitcnt lgkmcnt(2)
	v_mul_f64 v[4:5], v[48:49], v[139:140]
	s_waitcnt vmcnt(53)
	buffer_store_dword v129, off, s[36:39], 0 offset:420 ; 4-byte Folded Spill
	s_nop 0
	buffer_store_dword v130, off, s[36:39], 0 offset:424 ; 4-byte Folded Spill
	buffer_store_dword v131, off, s[36:39], 0 offset:428 ; 4-byte Folded Spill
	;; [unrolled: 1-line block ×3, first 2 shown]
	v_fma_f64 v[92:93], v[22:23], v[119:120], v[52:53]
	v_mul_f64 v[22:23], v[38:39], v[127:128]
	v_fma_f64 v[50:51], v[42:43], v[141:142], -v[6:7]
	v_fma_f64 v[54:55], v[44:45], v[141:142], v[20:21]
	v_fma_f64 v[52:53], v[46:47], v[137:138], -v[4:5]
	v_fma_f64 v[108:109], v[40:41], v[125:126], v[22:23]
	v_mul_f64 v[22:23], v[46:47], v[139:140]
	v_fma_f64 v[56:57], v[48:49], v[137:138], v[22:23]
	s_waitcnt lgkmcnt(1)
	v_mul_f64 v[6:7], v[62:63], v[135:136]
	v_mul_f64 v[20:21], v[60:61], v[135:136]
	s_waitcnt lgkmcnt(0)
	v_mul_f64 v[22:23], v[2:3], v[131:132]
	v_fma_f64 v[60:61], v[60:61], v[133:134], -v[6:7]
	ds_read_b128 v[4:7], v110 offset:50688
	s_waitcnt vmcnt(56)
	buffer_store_dword v145, off, s[36:39], 0 offset:436 ; 4-byte Folded Spill
	s_nop 0
	buffer_store_dword v146, off, s[36:39], 0 offset:440 ; 4-byte Folded Spill
	buffer_store_dword v147, off, s[36:39], 0 offset:444 ; 4-byte Folded Spill
	;; [unrolled: 1-line block ×3, first 2 shown]
	v_mul_f64 v[24:25], v[0:1], v[131:132]
	v_fma_f64 v[58:59], v[62:63], v[133:134], v[20:21]
	v_fma_f64 v[62:63], v[0:1], v[129:130], -v[22:23]
	v_fma_f64 v[64:65], v[2:3], v[129:130], v[24:25]
	s_waitcnt lgkmcnt(0)
	v_mul_f64 v[0:1], v[6:7], v[147:148]
	v_mul_f64 v[2:3], v[4:5], v[147:148]
	v_fma_f64 v[68:69], v[4:5], v[145:146], -v[0:1]
	v_mul_u32_u24_sdwa v0, v85, s27 dst_sel:DWORD dst_unused:UNUSED_PAD src0_sel:WORD_0 src1_sel:DWORD
	v_lshrrev_b32_e32 v76, 18, v0
	v_mul_lo_u16_e32 v0, 6, v76
	v_sub_u16_e32 v77, v85, v0
	v_mul_lo_u16_e32 v0, 0x50, v77
	v_add_co_u32_e32 v4, vcc, s10, v0
	v_addc_co_u32_e32 v5, vcc, 0, v86, vcc
	global_load_dwordx4 v[20:23], v[4:5], off
	v_fma_f64 v[66:67], v[6:7], v[145:146], v[2:3]
	ds_read_b128 v[0:3], v110 offset:16128
	s_waitcnt vmcnt(0) lgkmcnt(0)
	v_mul_f64 v[6:7], v[2:3], v[22:23]
	v_fma_f64 v[30:31], v[0:1], v[20:21], -v[6:7]
	buffer_store_dword v20, off, s[36:39], 0 offset:664 ; 4-byte Folded Spill
	s_nop 0
	buffer_store_dword v21, off, s[36:39], 0 offset:668 ; 4-byte Folded Spill
	buffer_store_dword v22, off, s[36:39], 0 offset:672 ; 4-byte Folded Spill
	;; [unrolled: 1-line block ×3, first 2 shown]
	v_mul_f64 v[0:1], v[0:1], v[22:23]
	v_fma_f64 v[32:33], v[2:3], v[20:21], v[0:1]
	global_load_dwordx4 v[20:23], v[4:5], off offset:16
	s_waitcnt vmcnt(0)
	buffer_store_dword v20, off, s[36:39], 0 offset:680 ; 4-byte Folded Spill
	s_nop 0
	buffer_store_dword v21, off, s[36:39], 0 offset:684 ; 4-byte Folded Spill
	buffer_store_dword v22, off, s[36:39], 0 offset:688 ; 4-byte Folded Spill
	buffer_store_dword v23, off, s[36:39], 0 offset:692 ; 4-byte Folded Spill
	ds_read_b128 v[0:3], v110 offset:25344
	s_waitcnt lgkmcnt(0)
	v_mul_f64 v[6:7], v[2:3], v[22:23]
	v_fma_f64 v[34:35], v[0:1], v[20:21], -v[6:7]
	v_mul_f64 v[0:1], v[0:1], v[22:23]
	v_fma_f64 v[36:37], v[2:3], v[20:21], v[0:1]
	global_load_dwordx4 v[20:23], v[4:5], off offset:32
	s_waitcnt vmcnt(0)
	buffer_store_dword v20, off, s[36:39], 0 offset:696 ; 4-byte Folded Spill
	s_nop 0
	buffer_store_dword v21, off, s[36:39], 0 offset:700 ; 4-byte Folded Spill
	buffer_store_dword v22, off, s[36:39], 0 offset:704 ; 4-byte Folded Spill
	buffer_store_dword v23, off, s[36:39], 0 offset:708 ; 4-byte Folded Spill
	ds_read_b128 v[0:3], v110 offset:34560
	s_waitcnt lgkmcnt(0)
	v_mul_f64 v[6:7], v[2:3], v[22:23]
	v_fma_f64 v[40:41], v[0:1], v[20:21], -v[6:7]
	;; [unrolled: 13-line block ×3, first 2 shown]
	v_mul_f64 v[0:1], v[0:1], v[22:23]
	v_fma_f64 v[44:45], v[2:3], v[20:21], v[0:1]
	global_load_dwordx4 v[20:23], v[4:5], off offset:64
	ds_read_b128 v[0:3], v110 offset:52992
	s_waitcnt vmcnt(0) lgkmcnt(0)
	v_mul_f64 v[4:5], v[2:3], v[22:23]
	v_fma_f64 v[48:49], v[0:1], v[20:21], -v[4:5]
	buffer_store_dword v20, off, s[36:39], 0 offset:808 ; 4-byte Folded Spill
	s_nop 0
	buffer_store_dword v21, off, s[36:39], 0 offset:812 ; 4-byte Folded Spill
	buffer_store_dword v22, off, s[36:39], 0 offset:816 ; 4-byte Folded Spill
	buffer_store_dword v23, off, s[36:39], 0 offset:820 ; 4-byte Folded Spill
	v_add_f64 v[4:5], v[82:83], v[12:13]
	v_mul_f64 v[0:1], v[0:1], v[22:23]
	v_fma_f64 v[46:47], v[2:3], v[20:21], v[0:1]
	ds_read_b128 v[0:3], v110
	s_waitcnt lgkmcnt(0)
	v_fma_f64 v[20:21], v[4:5], -0.5, v[0:1]
	v_add_f64 v[4:5], v[88:89], v[14:15]
	v_add_f64 v[0:1], v[0:1], v[82:83]
	v_add_f64 v[82:83], v[82:83], -v[12:13]
	v_fma_f64 v[22:23], v[4:5], -0.5, v[2:3]
	v_add_f64 v[4:5], v[0:1], v[12:13]
	v_add_f64 v[0:1], v[78:79], v[8:9]
	;; [unrolled: 1-line block ×8, first 2 shown]
	v_add_f64 v[4:5], v[4:5], -v[24:25]
	v_add_f64 v[24:25], v[10:11], v[18:19]
	v_add_f64 v[18:19], v[10:11], -v[18:19]
	v_add_f64 v[2:3], v[6:7], v[26:27]
	;; [unrolled: 2-line block ×3, first 2 shown]
	v_fma_f64 v[24:25], v[24:25], -0.5, v[80:81]
	v_add_f64 v[16:17], v[8:9], -v[16:17]
	v_add_f64 v[80:81], v[88:89], -v[14:15]
	v_fma_f64 v[88:89], v[82:83], s[8:9], v[22:23]
	v_fma_f64 v[26:27], v[26:27], -0.5, v[78:79]
	v_fma_f64 v[8:9], v[16:17], s[8:9], v[24:25]
	v_fma_f64 v[16:17], v[16:17], s[6:7], v[24:25]
	;; [unrolled: 1-line block ×4, first 2 shown]
	v_mul_f64 v[12:13], v[8:9], s[6:7]
	v_fma_f64 v[26:27], v[80:81], s[8:9], v[20:21]
	v_fma_f64 v[78:79], v[10:11], 0.5, v[12:13]
	v_mul_f64 v[10:11], v[10:11], s[8:9]
	v_fma_f64 v[10:11], v[8:9], 0.5, v[10:11]
	v_fma_f64 v[8:9], v[80:81], s[6:7], v[20:21]
	v_mul_f64 v[20:21], v[18:19], -0.5
	v_add_f64 v[14:15], v[88:89], v[10:11]
	v_add_f64 v[12:13], v[8:9], v[78:79]
	v_fma_f64 v[24:25], v[16:17], s[6:7], v[20:21]
	v_mul_f64 v[16:17], v[16:17], -0.5
	v_add_f64 v[8:9], v[8:9], -v[78:79]
	v_fma_f64 v[78:79], v[82:83], s[6:7], v[22:23]
	v_add_f64 v[10:11], v[88:89], -v[10:11]
	v_add_f64 v[20:21], v[26:27], v[24:25]
	v_fma_f64 v[18:19], v[18:19], s[8:9], v[16:17]
	v_add_f64 v[16:17], v[26:27], -v[24:25]
	ds_read_b128 v[24:27], v110 offset:2304
	v_add_f64 v[22:23], v[78:79], v[18:19]
	v_add_f64 v[18:19], v[78:79], -v[18:19]
	v_add_f64 v[78:79], v[94:95], v[102:103]
	s_waitcnt lgkmcnt(0)
	v_fma_f64 v[82:83], v[78:79], -0.5, v[24:25]
	v_add_f64 v[78:79], v[96:97], v[104:105]
	v_add_f64 v[24:25], v[24:25], v[94:95]
	v_fma_f64 v[111:112], v[78:79], -0.5, v[26:27]
	v_add_f64 v[78:79], v[24:25], v[102:103]
	v_add_f64 v[24:25], v[90:91], v[98:99]
	;; [unrolled: 1-line block ×3, first 2 shown]
	v_add_f64 v[96:97], v[96:97], -v[104:105]
	v_add_f64 v[102:103], v[94:95], -v[102:103]
	v_add_f64 v[88:89], v[24:25], v[106:107]
	v_add_f64 v[24:25], v[92:93], v[100:101]
	;; [unrolled: 1-line block ×5, first 2 shown]
	v_add_f64 v[78:79], v[78:79], -v[88:89]
	v_add_f64 v[88:89], v[100:101], v[108:109]
	v_add_f64 v[100:101], v[100:101], -v[108:109]
	v_fma_f64 v[108:109], v[102:103], s[8:9], v[111:112]
	v_fma_f64 v[102:103], v[102:103], s[6:7], v[111:112]
	v_add_f64 v[26:27], v[80:81], v[113:114]
	v_add_f64 v[80:81], v[80:81], -v[113:114]
	v_fma_f64 v[113:114], v[88:89], -0.5, v[92:93]
	v_add_f64 v[88:89], v[98:99], v[106:107]
	v_add_f64 v[98:99], v[98:99], -v[106:107]
	v_fma_f64 v[106:107], v[96:97], s[6:7], v[82:83]
	v_fma_f64 v[82:83], v[96:97], s[8:9], v[82:83]
	v_fma_f64 v[104:105], v[88:89], -0.5, v[90:91]
	v_fma_f64 v[88:89], v[98:99], s[8:9], v[113:114]
	v_fma_f64 v[96:97], v[98:99], s[6:7], v[113:114]
	;; [unrolled: 1-line block ×4, first 2 shown]
	v_mul_f64 v[92:93], v[88:89], s[6:7]
	v_mul_f64 v[98:99], v[100:101], -0.5
	v_fma_f64 v[92:93], v[90:91], 0.5, v[92:93]
	v_mul_f64 v[90:91], v[90:91], s[8:9]
	v_fma_f64 v[104:105], v[96:97], s[6:7], v[98:99]
	v_mul_f64 v[96:97], v[96:97], -0.5
	v_fma_f64 v[94:95], v[88:89], 0.5, v[90:91]
	v_add_f64 v[88:89], v[106:107], v[92:93]
	v_add_f64 v[92:93], v[106:107], -v[92:93]
	v_fma_f64 v[106:107], v[100:101], s[8:9], v[96:97]
	v_add_f64 v[96:97], v[82:83], v[104:105]
	v_add_f64 v[100:101], v[82:83], -v[104:105]
	v_add_f64 v[82:83], v[52:53], v[62:63]
	v_add_f64 v[90:91], v[108:109], v[94:95]
	v_add_f64 v[94:95], v[108:109], -v[94:95]
	v_add_f64 v[108:109], v[56:57], v[64:65]
	v_add_f64 v[98:99], v[102:103], v[106:107]
	v_add_f64 v[102:103], v[102:103], -v[106:107]
	ds_read_b128 v[104:107], v110 offset:4608
	s_waitcnt lgkmcnt(0)
	v_fma_f64 v[82:83], v[82:83], -0.5, v[104:105]
	v_add_f64 v[104:105], v[104:105], v[52:53]
	v_fma_f64 v[108:109], v[108:109], -0.5, v[106:107]
	v_add_f64 v[106:107], v[106:107], v[56:57]
	v_add_f64 v[111:112], v[104:105], v[62:63]
	;; [unrolled: 1-line block ×4, first 2 shown]
	v_add_f64 v[64:65], v[56:57], -v[64:65]
	v_add_f64 v[62:63], v[52:53], -v[62:63]
	v_add_f64 v[115:116], v[104:105], v[68:69]
	v_add_f64 v[104:105], v[54:55], v[58:59]
	;; [unrolled: 1-line block ×4, first 2 shown]
	v_add_f64 v[111:112], v[111:112], -v[115:116]
	v_add_f64 v[115:116], v[58:59], v[66:67]
	v_add_f64 v[58:59], v[58:59], -v[66:67]
	v_fma_f64 v[66:67], v[64:65], s[6:7], v[82:83]
	v_fma_f64 v[64:65], v[64:65], s[8:9], v[82:83]
	v_add_f64 v[82:83], v[34:35], v[42:43]
	v_add_f64 v[106:107], v[113:114], v[117:118]
	v_add_f64 v[113:114], v[113:114], -v[117:118]
	v_fma_f64 v[117:118], v[62:63], s[8:9], v[108:109]
	v_fma_f64 v[115:116], v[115:116], -0.5, v[54:55]
	v_add_f64 v[54:55], v[60:61], v[68:69]
	v_add_f64 v[60:61], v[60:61], -v[68:69]
	v_fma_f64 v[68:69], v[54:55], -0.5, v[50:51]
	v_fma_f64 v[50:51], v[60:61], s[8:9], v[115:116]
	v_fma_f64 v[60:61], v[60:61], s[6:7], v[115:116]
	;; [unrolled: 1-line block ×3, first 2 shown]
	v_mul_f64 v[54:55], v[50:51], s[6:7]
	v_fma_f64 v[58:59], v[58:59], s[8:9], v[68:69]
	v_fma_f64 v[54:55], v[52:53], 0.5, v[54:55]
	v_mul_f64 v[52:53], v[52:53], s[8:9]
	v_fma_f64 v[56:57], v[50:51], 0.5, v[52:53]
	v_add_f64 v[50:51], v[66:67], v[54:55]
	v_add_f64 v[54:55], v[66:67], -v[54:55]
	v_fma_f64 v[66:67], v[62:63], s[6:7], v[108:109]
	v_mul_f64 v[62:63], v[58:59], -0.5
	v_add_f64 v[108:109], v[36:37], v[44:45]
	v_add_f64 v[52:53], v[117:118], v[56:57]
	v_add_f64 v[56:57], v[117:118], -v[56:57]
	v_fma_f64 v[62:63], v[60:61], s[6:7], v[62:63]
	v_mul_f64 v[60:61], v[60:61], -0.5
	v_fma_f64 v[68:69], v[58:59], s[8:9], v[60:61]
	v_add_f64 v[58:59], v[64:65], v[62:63]
	v_add_f64 v[62:63], v[64:65], -v[62:63]
	v_add_f64 v[60:61], v[66:67], v[68:69]
	v_add_f64 v[64:65], v[66:67], -v[68:69]
	ds_read_b128 v[66:69], v110 offset:6912
	s_waitcnt lgkmcnt(0)
	v_fma_f64 v[82:83], v[82:83], -0.5, v[66:67]
	v_add_f64 v[66:67], v[66:67], v[34:35]
	v_fma_f64 v[108:109], v[108:109], -0.5, v[68:69]
	v_add_f64 v[68:69], v[68:69], v[36:37]
	v_add_f64 v[115:116], v[66:67], v[42:43]
	;; [unrolled: 1-line block ×4, first 2 shown]
	v_add_f64 v[44:45], v[36:37], -v[44:45]
	v_add_f64 v[42:43], v[34:35], -v[42:43]
	v_add_f64 v[119:120], v[66:67], v[48:49]
	v_add_f64 v[66:67], v[32:33], v[38:39]
	v_add_f64 v[121:122], v[66:67], v[46:47]
	v_add_f64 v[66:67], v[115:116], v[119:120]
	v_add_f64 v[115:116], v[115:116], -v[119:120]
	v_add_f64 v[119:120], v[38:39], v[46:47]
	v_add_f64 v[38:39], v[38:39], -v[46:47]
	v_fma_f64 v[46:47], v[44:45], s[6:7], v[82:83]
	v_fma_f64 v[44:45], v[44:45], s[8:9], v[82:83]
	v_add_f64 v[68:69], v[117:118], v[121:122]
	v_add_f64 v[117:118], v[117:118], -v[121:122]
	v_fma_f64 v[121:122], v[42:43], s[8:9], v[108:109]
	v_fma_f64 v[119:120], v[119:120], -0.5, v[32:33]
	v_add_f64 v[32:33], v[40:41], v[48:49]
	v_add_f64 v[40:41], v[40:41], -v[48:49]
	v_fma_f64 v[48:49], v[32:33], -0.5, v[30:31]
	v_fma_f64 v[30:31], v[40:41], s[8:9], v[119:120]
	v_fma_f64 v[40:41], v[40:41], s[6:7], v[119:120]
	;; [unrolled: 1-line block ×3, first 2 shown]
	v_mul_f64 v[34:35], v[30:31], s[6:7]
	v_fma_f64 v[38:39], v[38:39], s[8:9], v[48:49]
	v_fma_f64 v[34:35], v[32:33], 0.5, v[34:35]
	v_mul_f64 v[32:33], v[32:33], s[8:9]
	v_fma_f64 v[36:37], v[30:31], 0.5, v[32:33]
	v_add_f64 v[30:31], v[46:47], v[34:35]
	v_add_f64 v[34:35], v[46:47], -v[34:35]
	v_fma_f64 v[46:47], v[42:43], s[6:7], v[108:109]
	v_mul_f64 v[42:43], v[38:39], -0.5
	v_add_f64 v[32:33], v[121:122], v[36:37]
	v_add_f64 v[36:37], v[121:122], -v[36:37]
	v_fma_f64 v[42:43], v[40:41], s[6:7], v[42:43]
	v_mul_f64 v[40:41], v[40:41], -0.5
	v_fma_f64 v[48:49], v[38:39], s[8:9], v[40:41]
	v_add_f64 v[38:39], v[44:45], v[42:43]
	v_add_f64 v[42:43], v[44:45], -v[42:43]
	v_add_f64 v[40:41], v[46:47], v[48:49]
	v_add_f64 v[44:45], v[46:47], -v[48:49]
	v_mul_u32_u24_e32 v46, 36, v70
	v_add_lshl_u32 v46, v46, v71, 4
	buffer_store_dword v46, off, s[36:39], 0 offset:1044 ; 4-byte Folded Spill
	s_waitcnt vmcnt(0)
	s_barrier
	ds_write_b128 v46, v[0:3]
	ds_write_b128 v46, v[12:15] offset:96
	ds_write_b128 v46, v[20:23] offset:192
	ds_write_b128 v46, v[4:7] offset:288
	ds_write_b128 v46, v[8:11] offset:384
	ds_write_b128 v46, v[16:19] offset:480
	v_mad_legacy_u16 v0, v72, 36, v73
	v_lshlrev_b32_e32 v0, 4, v0
	buffer_store_dword v0, off, s[36:39], 0 offset:908 ; 4-byte Folded Spill
	ds_write_b128 v0, v[24:27]
	ds_write_b128 v0, v[88:91] offset:96
	ds_write_b128 v0, v[96:99] offset:192
	ds_write_b128 v0, v[78:81] offset:288
	ds_write_b128 v0, v[92:95] offset:384
	ds_write_b128 v0, v[100:103] offset:480
	v_mad_legacy_u16 v0, v74, 36, v75
	v_lshlrev_b32_e32 v0, 4, v0
	buffer_store_dword v0, off, s[36:39], 0 offset:824 ; 4-byte Folded Spill
	;; [unrolled: 9-line block ×3, first 2 shown]
	ds_write_b128 v0, v[66:69]
	ds_write_b128 v0, v[30:33] offset:96
	ds_write_b128 v0, v[38:41] offset:192
	;; [unrolled: 1-line block ×5, first 2 shown]
	v_mov_b32_e32 v0, 57
	v_mul_lo_u16_sdwa v0, v124, v0 dst_sel:DWORD dst_unused:UNUSED_PAD src0_sel:BYTE_0 src1_sel:DWORD
	v_lshrrev_b16_e32 v88, 11, v0
	v_mul_lo_u16_e32 v0, 36, v88
	v_sub_u16_e32 v0, v124, v0
	v_and_b32_e32 v89, 0xff, v0
	v_mad_u64_u32 v[0:1], s[26:27], v89, s26, v[28:29]
	s_waitcnt vmcnt(0) lgkmcnt(0)
	s_barrier
	global_load_dwordx4 v[40:43], v[0:1], off offset:480
	global_load_dwordx4 v[36:39], v[0:1], off offset:496
	s_waitcnt vmcnt(0)
	buffer_store_dword v36, off, s[36:39], 0 offset:776 ; 4-byte Folded Spill
	s_nop 0
	buffer_store_dword v37, off, s[36:39], 0 offset:780 ; 4-byte Folded Spill
	buffer_store_dword v38, off, s[36:39], 0 offset:784 ; 4-byte Folded Spill
	;; [unrolled: 1-line block ×3, first 2 shown]
	global_load_dwordx4 v[32:35], v[0:1], off offset:512
	global_load_dwordx4 v[28:31], v[0:1], off offset:528
	;; [unrolled: 1-line block ×3, first 2 shown]
	ds_read_b128 v[0:3], v110 offset:9216
	ds_read_b128 v[4:7], v110 offset:18432
	;; [unrolled: 1-line block ×3, first 2 shown]
	buffer_store_dword v40, off, s[36:39], 0 offset:792 ; 4-byte Folded Spill
	s_nop 0
	buffer_store_dword v41, off, s[36:39], 0 offset:796 ; 4-byte Folded Spill
	buffer_store_dword v42, off, s[36:39], 0 offset:800 ; 4-byte Folded Spill
	;; [unrolled: 1-line block ×3, first 2 shown]
	s_waitcnt vmcnt(6)
	buffer_store_dword v32, off, s[36:39], 0 offset:744 ; 4-byte Folded Spill
	s_nop 0
	buffer_store_dword v33, off, s[36:39], 0 offset:748 ; 4-byte Folded Spill
	buffer_store_dword v34, off, s[36:39], 0 offset:752 ; 4-byte Folded Spill
	;; [unrolled: 1-line block ×3, first 2 shown]
	s_waitcnt lgkmcnt(2)
	v_mul_f64 v[16:17], v[2:3], v[42:43]
	v_mul_f64 v[18:19], v[0:1], v[42:43]
	ds_read_b128 v[12:15], v110 offset:36864
	s_waitcnt lgkmcnt(2)
	v_mul_f64 v[20:21], v[6:7], v[38:39]
	v_mul_f64 v[22:23], v[4:5], v[38:39]
	s_mov_b32 s26, 0xe38f
	v_fma_f64 v[16:17], v[0:1], v[40:41], -v[16:17]
	v_fma_f64 v[18:19], v[2:3], v[40:41], v[18:19]
	ds_read_b128 v[0:3], v110 offset:46080
	s_waitcnt vmcnt(9)
	buffer_store_dword v28, off, s[36:39], 0 offset:760 ; 4-byte Folded Spill
	s_nop 0
	buffer_store_dword v29, off, s[36:39], 0 offset:764 ; 4-byte Folded Spill
	buffer_store_dword v30, off, s[36:39], 0 offset:768 ; 4-byte Folded Spill
	;; [unrolled: 1-line block ×3, first 2 shown]
	s_waitcnt vmcnt(12)
	buffer_store_dword v44, off, s[36:39], 0 offset:728 ; 4-byte Folded Spill
	s_nop 0
	buffer_store_dword v45, off, s[36:39], 0 offset:732 ; 4-byte Folded Spill
	buffer_store_dword v46, off, s[36:39], 0 offset:736 ; 4-byte Folded Spill
	;; [unrolled: 1-line block ×3, first 2 shown]
	v_fma_f64 v[20:21], v[4:5], v[36:37], -v[20:21]
	v_fma_f64 v[22:23], v[6:7], v[36:37], v[22:23]
	s_waitcnt lgkmcnt(2)
	v_mul_f64 v[24:25], v[10:11], v[34:35]
	v_mul_f64 v[26:27], v[8:9], v[34:35]
	v_fma_f64 v[8:9], v[8:9], v[32:33], -v[24:25]
	v_fma_f64 v[10:11], v[10:11], v[32:33], v[26:27]
	s_waitcnt lgkmcnt(1)
	v_mul_f64 v[4:5], v[14:15], v[30:31]
	s_waitcnt lgkmcnt(0)
	v_mul_f64 v[24:25], v[2:3], v[46:47]
	v_mul_f64 v[6:7], v[12:13], v[30:31]
	;; [unrolled: 1-line block ×3, first 2 shown]
	v_fma_f64 v[12:13], v[12:13], v[28:29], -v[4:5]
	v_fma_f64 v[24:25], v[0:1], v[44:45], -v[24:25]
	v_mul_u32_u24_sdwa v0, v84, s26 dst_sel:DWORD dst_unused:UNUSED_PAD src0_sel:WORD_0 src1_sel:DWORD
	v_lshrrev_b32_e32 v90, 21, v0
	v_mul_lo_u16_e32 v0, 36, v90
	v_sub_u16_e32 v91, v84, v0
	v_mul_lo_u16_e32 v0, 0x50, v91
	v_add_co_u32_e32 v4, vcc, s10, v0
	v_addc_co_u32_e32 v5, vcc, 0, v86, vcc
	v_fma_f64 v[14:15], v[14:15], v[28:29], v[6:7]
	global_load_dwordx4 v[28:31], v[4:5], off offset:480
	v_fma_f64 v[26:27], v[2:3], v[44:45], v[26:27]
	ds_read_b128 v[0:3], v110 offset:11520
	s_waitcnt vmcnt(0) lgkmcnt(0)
	v_mul_f64 v[6:7], v[2:3], v[30:31]
	v_fma_f64 v[68:69], v[0:1], v[28:29], -v[6:7]
	buffer_store_dword v28, off, s[36:39], 0 offset:828 ; 4-byte Folded Spill
	s_nop 0
	buffer_store_dword v29, off, s[36:39], 0 offset:832 ; 4-byte Folded Spill
	buffer_store_dword v30, off, s[36:39], 0 offset:836 ; 4-byte Folded Spill
	buffer_store_dword v31, off, s[36:39], 0 offset:840 ; 4-byte Folded Spill
	v_mul_f64 v[0:1], v[0:1], v[30:31]
	v_fma_f64 v[70:71], v[2:3], v[28:29], v[0:1]
	global_load_dwordx4 v[28:31], v[4:5], off offset:496
	s_waitcnt vmcnt(0)
	buffer_store_dword v28, off, s[36:39], 0 offset:844 ; 4-byte Folded Spill
	s_nop 0
	buffer_store_dword v29, off, s[36:39], 0 offset:848 ; 4-byte Folded Spill
	buffer_store_dword v30, off, s[36:39], 0 offset:852 ; 4-byte Folded Spill
	buffer_store_dword v31, off, s[36:39], 0 offset:856 ; 4-byte Folded Spill
	ds_read_b128 v[0:3], v110 offset:20736
	s_waitcnt lgkmcnt(0)
	v_mul_f64 v[6:7], v[2:3], v[30:31]
	v_fma_f64 v[72:73], v[0:1], v[28:29], -v[6:7]
	v_mul_f64 v[0:1], v[0:1], v[30:31]
	v_fma_f64 v[74:75], v[2:3], v[28:29], v[0:1]
	global_load_dwordx4 v[28:31], v[4:5], off offset:512
	s_waitcnt vmcnt(0)
	buffer_store_dword v28, off, s[36:39], 0 offset:876 ; 4-byte Folded Spill
	s_nop 0
	buffer_store_dword v29, off, s[36:39], 0 offset:880 ; 4-byte Folded Spill
	buffer_store_dword v30, off, s[36:39], 0 offset:884 ; 4-byte Folded Spill
	buffer_store_dword v31, off, s[36:39], 0 offset:888 ; 4-byte Folded Spill
	ds_read_b128 v[0:3], v110 offset:29952
	s_waitcnt lgkmcnt(0)
	v_mul_f64 v[6:7], v[2:3], v[30:31]
	v_fma_f64 v[78:79], v[0:1], v[28:29], -v[6:7]
	;; [unrolled: 13-line block ×3, first 2 shown]
	v_mul_f64 v[0:1], v[0:1], v[30:31]
	v_fma_f64 v[82:83], v[2:3], v[28:29], v[0:1]
	global_load_dwordx4 v[28:31], v[4:5], off offset:544
	ds_read_b128 v[0:3], v110 offset:48384
	s_waitcnt vmcnt(0) lgkmcnt(0)
	v_mul_f64 v[4:5], v[2:3], v[30:31]
	v_fma_f64 v[99:100], v[0:1], v[28:29], -v[4:5]
	buffer_store_dword v28, off, s[36:39], 0 offset:892 ; 4-byte Folded Spill
	s_nop 0
	buffer_store_dword v29, off, s[36:39], 0 offset:896 ; 4-byte Folded Spill
	buffer_store_dword v30, off, s[36:39], 0 offset:900 ; 4-byte Folded Spill
	;; [unrolled: 1-line block ×3, first 2 shown]
	v_mul_f64 v[0:1], v[0:1], v[30:31]
	v_fma_f64 v[101:102], v[2:3], v[28:29], v[0:1]
	v_mul_u32_u24_sdwa v0, v87, s26 dst_sel:DWORD dst_unused:UNUSED_PAD src0_sel:WORD_0 src1_sel:DWORD
	v_lshrrev_b32_e32 v92, 21, v0
	v_mul_lo_u16_e32 v0, 36, v92
	v_sub_u16_e32 v87, v87, v0
	v_mul_lo_u16_e32 v0, 0x50, v87
	v_add_co_u32_e32 v4, vcc, s10, v0
	v_addc_co_u32_e32 v5, vcc, 0, v86, vcc
	global_load_dwordx4 v[28:31], v[4:5], off offset:480
	ds_read_b128 v[0:3], v110 offset:13824
	s_waitcnt vmcnt(0) lgkmcnt(0)
	v_mul_f64 v[6:7], v[2:3], v[30:31]
	v_fma_f64 v[48:49], v[0:1], v[28:29], -v[6:7]
	buffer_store_dword v28, off, s[36:39], 0 offset:912 ; 4-byte Folded Spill
	s_nop 0
	buffer_store_dword v29, off, s[36:39], 0 offset:916 ; 4-byte Folded Spill
	buffer_store_dword v30, off, s[36:39], 0 offset:920 ; 4-byte Folded Spill
	buffer_store_dword v31, off, s[36:39], 0 offset:924 ; 4-byte Folded Spill
	v_mul_f64 v[0:1], v[0:1], v[30:31]
	v_fma_f64 v[50:51], v[2:3], v[28:29], v[0:1]
	global_load_dwordx4 v[28:31], v[4:5], off offset:496
	s_waitcnt vmcnt(0)
	buffer_store_dword v28, off, s[36:39], 0 offset:928 ; 4-byte Folded Spill
	s_nop 0
	buffer_store_dword v29, off, s[36:39], 0 offset:932 ; 4-byte Folded Spill
	buffer_store_dword v30, off, s[36:39], 0 offset:936 ; 4-byte Folded Spill
	buffer_store_dword v31, off, s[36:39], 0 offset:940 ; 4-byte Folded Spill
	ds_read_b128 v[0:3], v110 offset:23040
	s_waitcnt lgkmcnt(0)
	v_mul_f64 v[6:7], v[2:3], v[30:31]
	v_fma_f64 v[52:53], v[0:1], v[28:29], -v[6:7]
	v_mul_f64 v[0:1], v[0:1], v[30:31]
	v_fma_f64 v[54:55], v[2:3], v[28:29], v[0:1]
	global_load_dwordx4 v[28:31], v[4:5], off offset:512
	s_waitcnt vmcnt(0)
	buffer_store_dword v28, off, s[36:39], 0 offset:944 ; 4-byte Folded Spill
	s_nop 0
	buffer_store_dword v29, off, s[36:39], 0 offset:948 ; 4-byte Folded Spill
	buffer_store_dword v30, off, s[36:39], 0 offset:952 ; 4-byte Folded Spill
	buffer_store_dword v31, off, s[36:39], 0 offset:956 ; 4-byte Folded Spill
	ds_read_b128 v[0:3], v110 offset:32256
	s_waitcnt lgkmcnt(0)
	v_mul_f64 v[6:7], v[2:3], v[30:31]
	v_fma_f64 v[58:59], v[0:1], v[28:29], -v[6:7]
	;; [unrolled: 13-line block ×4, first 2 shown]
	v_mul_f64 v[0:1], v[0:1], v[30:31]
	v_fma_f64 v[64:65], v[2:3], v[28:29], v[0:1]
	v_mul_u32_u24_sdwa v0, v85, s26 dst_sel:DWORD dst_unused:UNUSED_PAD src0_sel:WORD_0 src1_sel:DWORD
	v_lshrrev_b32_e32 v93, 21, v0
	v_mul_lo_u16_e32 v0, 36, v93
	v_sub_u16_e32 v94, v85, v0
	v_mul_lo_u16_e32 v0, 0x50, v94
	v_add_co_u32_e32 v4, vcc, s10, v0
	v_addc_co_u32_e32 v5, vcc, 0, v86, vcc
	global_load_dwordx4 v[30:33], v[4:5], off offset:480
	ds_read_b128 v[0:3], v110 offset:16128
	s_movk_i32 s26, 0xd8
	s_waitcnt vmcnt(0) lgkmcnt(0)
	v_mul_f64 v[6:7], v[2:3], v[32:33]
	v_fma_f64 v[28:29], v[0:1], v[30:31], -v[6:7]
	buffer_store_dword v30, off, s[36:39], 0 offset:1048 ; 4-byte Folded Spill
	s_nop 0
	buffer_store_dword v31, off, s[36:39], 0 offset:1052 ; 4-byte Folded Spill
	buffer_store_dword v32, off, s[36:39], 0 offset:1056 ; 4-byte Folded Spill
	;; [unrolled: 1-line block ×3, first 2 shown]
	global_load_dwordx4 v[248:251], v[4:5], off offset:496
	global_load_dwordx4 v[244:247], v[4:5], off offset:512
	;; [unrolled: 1-line block ×4, first 2 shown]
	v_mul_f64 v[0:1], v[0:1], v[32:33]
	v_fma_f64 v[30:31], v[2:3], v[30:31], v[0:1]
	ds_read_b128 v[0:3], v110 offset:25344
	s_waitcnt vmcnt(3) lgkmcnt(0)
	v_mul_f64 v[6:7], v[2:3], v[250:251]
	v_fma_f64 v[32:33], v[0:1], v[248:249], -v[6:7]
	v_mul_f64 v[0:1], v[0:1], v[250:251]
	v_fma_f64 v[34:35], v[2:3], v[248:249], v[0:1]
	ds_read_b128 v[0:3], v110 offset:34560
	s_waitcnt vmcnt(2) lgkmcnt(0)
	v_mul_f64 v[6:7], v[2:3], v[246:247]
	v_fma_f64 v[38:39], v[0:1], v[244:245], -v[6:7]
	;; [unrolled: 6-line block ×4, first 2 shown]
	v_mul_f64 v[0:1], v[0:1], v[230:231]
	v_add_f64 v[4:5], v[20:21], v[12:13]
	v_fma_f64 v[44:45], v[2:3], v[228:229], v[0:1]
	ds_read_b128 v[0:3], v110
	s_waitcnt lgkmcnt(0)
	v_fma_f64 v[95:96], v[4:5], -0.5, v[0:1]
	v_add_f64 v[4:5], v[22:23], v[14:15]
	v_add_f64 v[0:1], v[0:1], v[20:21]
	v_add_f64 v[20:21], v[20:21], -v[12:13]
	v_fma_f64 v[97:98], v[4:5], -0.5, v[2:3]
	v_add_f64 v[4:5], v[0:1], v[12:13]
	v_add_f64 v[0:1], v[16:17], v[8:9]
	;; [unrolled: 1-line block ×3, first 2 shown]
	v_add_f64 v[22:23], v[22:23], -v[14:15]
	v_add_f64 v[103:104], v[0:1], v[24:25]
	v_add_f64 v[0:1], v[18:19], v[10:11]
	;; [unrolled: 1-line block ×5, first 2 shown]
	v_add_f64 v[4:5], v[4:5], -v[103:104]
	v_add_f64 v[103:104], v[10:11], v[26:27]
	v_add_f64 v[26:27], v[10:11], -v[26:27]
	v_add_f64 v[2:3], v[6:7], v[105:106]
	v_add_f64 v[6:7], v[6:7], -v[105:106]
	v_fma_f64 v[105:106], v[20:21], s[8:9], v[97:98]
	v_fma_f64 v[18:19], v[103:104], -0.5, v[18:19]
	v_add_f64 v[103:104], v[8:9], v[24:25]
	v_add_f64 v[24:25], v[8:9], -v[24:25]
	v_fma_f64 v[16:17], v[103:104], -0.5, v[16:17]
	v_fma_f64 v[8:9], v[24:25], s[8:9], v[18:19]
	v_fma_f64 v[18:19], v[24:25], s[6:7], v[18:19]
	;; [unrolled: 1-line block ×3, first 2 shown]
	v_mul_f64 v[12:13], v[8:9], s[6:7]
	v_fma_f64 v[16:17], v[26:27], s[8:9], v[16:17]
	v_fma_f64 v[26:27], v[22:23], s[8:9], v[95:96]
	v_fma_f64 v[103:104], v[10:11], 0.5, v[12:13]
	v_mul_f64 v[10:11], v[10:11], s[8:9]
	v_fma_f64 v[10:11], v[8:9], 0.5, v[10:11]
	v_fma_f64 v[8:9], v[22:23], s[6:7], v[95:96]
	v_fma_f64 v[95:96], v[20:21], s[6:7], v[97:98]
	v_mul_f64 v[20:21], v[16:17], -0.5
	v_add_f64 v[14:15], v[105:106], v[10:11]
	v_add_f64 v[12:13], v[8:9], v[103:104]
	v_add_f64 v[8:9], v[8:9], -v[103:104]
	v_fma_f64 v[24:25], v[18:19], s[6:7], v[20:21]
	v_mul_f64 v[18:19], v[18:19], -0.5
	v_add_f64 v[10:11], v[105:106], -v[10:11]
	v_add_f64 v[20:21], v[26:27], v[24:25]
	v_fma_f64 v[18:19], v[16:17], s[8:9], v[18:19]
	v_add_f64 v[16:17], v[26:27], -v[24:25]
	ds_read_b128 v[24:27], v110 offset:2304
	v_add_f64 v[22:23], v[95:96], v[18:19]
	v_add_f64 v[18:19], v[95:96], -v[18:19]
	v_add_f64 v[95:96], v[72:73], v[80:81]
	s_waitcnt lgkmcnt(0)
	v_fma_f64 v[103:104], v[95:96], -0.5, v[24:25]
	v_add_f64 v[95:96], v[74:75], v[82:83]
	v_add_f64 v[24:25], v[24:25], v[72:73]
	v_fma_f64 v[105:106], v[95:96], -0.5, v[26:27]
	v_add_f64 v[95:96], v[24:25], v[80:81]
	v_add_f64 v[24:25], v[68:69], v[78:79]
	;; [unrolled: 1-line block ×3, first 2 shown]
	v_add_f64 v[80:81], v[72:73], -v[80:81]
	v_add_f64 v[107:108], v[24:25], v[99:100]
	v_add_f64 v[24:25], v[70:71], v[76:77]
	;; [unrolled: 1-line block ×3, first 2 shown]
	v_add_f64 v[82:83], v[74:75], -v[82:83]
	v_add_f64 v[111:112], v[24:25], v[101:102]
	v_add_f64 v[24:25], v[95:96], v[107:108]
	v_add_f64 v[95:96], v[95:96], -v[107:108]
	v_add_f64 v[107:108], v[76:77], v[101:102]
	v_add_f64 v[76:77], v[76:77], -v[101:102]
	v_fma_f64 v[101:102], v[82:83], s[6:7], v[103:104]
	v_fma_f64 v[82:83], v[82:83], s[8:9], v[103:104]
	v_add_f64 v[103:104], v[52:53], v[60:61]
	v_add_f64 v[26:27], v[97:98], v[111:112]
	v_add_f64 v[97:98], v[97:98], -v[111:112]
	v_fma_f64 v[111:112], v[80:81], s[8:9], v[105:106]
	v_fma_f64 v[107:108], v[107:108], -0.5, v[70:71]
	v_add_f64 v[70:71], v[78:79], v[99:100]
	v_add_f64 v[78:79], v[78:79], -v[99:100]
	v_fma_f64 v[99:100], v[70:71], -0.5, v[68:69]
	v_fma_f64 v[68:69], v[78:79], s[8:9], v[107:108]
	v_fma_f64 v[78:79], v[78:79], s[6:7], v[107:108]
	;; [unrolled: 1-line block ×4, first 2 shown]
	v_mul_f64 v[72:73], v[68:69], s[6:7]
	v_fma_f64 v[99:100], v[80:81], s[6:7], v[105:106]
	v_mul_f64 v[80:81], v[76:77], -0.5
	v_fma_f64 v[72:73], v[70:71], 0.5, v[72:73]
	v_mul_f64 v[70:71], v[70:71], s[8:9]
	v_fma_f64 v[80:81], v[78:79], s[6:7], v[80:81]
	v_mul_f64 v[78:79], v[78:79], -0.5
	v_fma_f64 v[74:75], v[68:69], 0.5, v[70:71]
	v_add_f64 v[68:69], v[101:102], v[72:73]
	v_add_f64 v[72:73], v[101:102], -v[72:73]
	v_fma_f64 v[101:102], v[76:77], s[8:9], v[78:79]
	v_add_f64 v[76:77], v[82:83], v[80:81]
	v_add_f64 v[80:81], v[82:83], -v[80:81]
	v_add_f64 v[70:71], v[111:112], v[74:75]
	v_add_f64 v[74:75], v[111:112], -v[74:75]
	;; [unrolled: 2-line block ×3, first 2 shown]
	ds_read_b128 v[99:102], v110 offset:4608
	s_waitcnt lgkmcnt(0)
	v_fma_f64 v[107:108], v[103:104], -0.5, v[99:100]
	v_add_f64 v[103:104], v[54:55], v[62:63]
	v_add_f64 v[99:100], v[99:100], v[52:53]
	v_fma_f64 v[111:112], v[103:104], -0.5, v[101:102]
	v_add_f64 v[103:104], v[99:100], v[60:61]
	v_add_f64 v[99:100], v[48:49], v[58:59]
	;; [unrolled: 1-line block ×3, first 2 shown]
	v_add_f64 v[60:61], v[52:53], -v[60:61]
	v_add_f64 v[113:114], v[99:100], v[66:67]
	v_add_f64 v[99:100], v[50:51], v[56:57]
	v_add_f64 v[105:106], v[101:102], v[62:63]
	v_add_f64 v[62:63], v[54:55], -v[62:63]
	v_add_f64 v[115:116], v[99:100], v[64:65]
	v_add_f64 v[99:100], v[103:104], v[113:114]
	v_add_f64 v[103:104], v[103:104], -v[113:114]
	v_add_f64 v[113:114], v[56:57], v[64:65]
	v_add_f64 v[56:57], v[56:57], -v[64:65]
	v_fma_f64 v[64:65], v[62:63], s[6:7], v[107:108]
	v_fma_f64 v[62:63], v[62:63], s[8:9], v[107:108]
	v_add_f64 v[107:108], v[32:33], v[40:41]
	v_add_f64 v[101:102], v[105:106], v[115:116]
	v_add_f64 v[105:106], v[105:106], -v[115:116]
	v_fma_f64 v[115:116], v[60:61], s[8:9], v[111:112]
	v_fma_f64 v[113:114], v[113:114], -0.5, v[50:51]
	v_add_f64 v[50:51], v[58:59], v[66:67]
	v_add_f64 v[58:59], v[58:59], -v[66:67]
	v_fma_f64 v[66:67], v[50:51], -0.5, v[48:49]
	v_fma_f64 v[48:49], v[58:59], s[8:9], v[113:114]
	v_fma_f64 v[58:59], v[58:59], s[6:7], v[113:114]
	;; [unrolled: 1-line block ×3, first 2 shown]
	v_mul_f64 v[52:53], v[48:49], s[6:7]
	v_fma_f64 v[56:57], v[56:57], s[8:9], v[66:67]
	v_fma_f64 v[52:53], v[50:51], 0.5, v[52:53]
	v_mul_f64 v[50:51], v[50:51], s[8:9]
	v_fma_f64 v[54:55], v[48:49], 0.5, v[50:51]
	v_add_f64 v[48:49], v[64:65], v[52:53]
	v_add_f64 v[52:53], v[64:65], -v[52:53]
	v_fma_f64 v[64:65], v[60:61], s[6:7], v[111:112]
	v_mul_f64 v[60:61], v[56:57], -0.5
	v_add_f64 v[111:112], v[34:35], v[42:43]
	v_add_f64 v[50:51], v[115:116], v[54:55]
	v_add_f64 v[54:55], v[115:116], -v[54:55]
	v_fma_f64 v[60:61], v[58:59], s[6:7], v[60:61]
	v_mul_f64 v[58:59], v[58:59], -0.5
	v_fma_f64 v[66:67], v[56:57], s[8:9], v[58:59]
	v_add_f64 v[56:57], v[62:63], v[60:61]
	v_add_f64 v[60:61], v[62:63], -v[60:61]
	v_add_f64 v[58:59], v[64:65], v[66:67]
	v_add_f64 v[62:63], v[64:65], -v[66:67]
	ds_read_b128 v[64:67], v110 offset:6912
	s_waitcnt lgkmcnt(0)
	s_barrier
	v_fma_f64 v[107:108], v[107:108], -0.5, v[64:65]
	v_add_f64 v[64:65], v[64:65], v[32:33]
	v_fma_f64 v[116:117], v[111:112], -0.5, v[66:67]
	v_add_f64 v[66:67], v[66:67], v[34:35]
	v_add_f64 v[111:112], v[64:65], v[40:41]
	;; [unrolled: 1-line block ×4, first 2 shown]
	v_add_f64 v[42:43], v[34:35], -v[42:43]
	v_add_f64 v[40:41], v[32:33], -v[40:41]
	v_add_f64 v[118:119], v[64:65], v[46:47]
	v_add_f64 v[64:65], v[30:31], v[36:37]
	;; [unrolled: 1-line block ×4, first 2 shown]
	v_add_f64 v[112:113], v[111:112], -v[118:119]
	v_add_f64 v[118:119], v[36:37], v[44:45]
	v_add_f64 v[36:37], v[36:37], -v[44:45]
	v_fma_f64 v[44:45], v[42:43], s[6:7], v[107:108]
	v_fma_f64 v[42:43], v[42:43], s[8:9], v[107:108]
	v_add_f64 v[66:67], v[114:115], v[120:121]
	v_add_f64 v[114:115], v[114:115], -v[120:121]
	v_fma_f64 v[120:121], v[40:41], s[8:9], v[116:117]
	v_fma_f64 v[118:119], v[118:119], -0.5, v[30:31]
	v_add_f64 v[30:31], v[38:39], v[46:47]
	v_add_f64 v[38:39], v[38:39], -v[46:47]
	v_fma_f64 v[46:47], v[30:31], -0.5, v[28:29]
	v_fma_f64 v[28:29], v[38:39], s[8:9], v[118:119]
	v_fma_f64 v[38:39], v[38:39], s[6:7], v[118:119]
	;; [unrolled: 1-line block ×3, first 2 shown]
	v_mul_f64 v[32:33], v[28:29], s[6:7]
	v_fma_f64 v[36:37], v[36:37], s[8:9], v[46:47]
	v_fma_f64 v[32:33], v[30:31], 0.5, v[32:33]
	v_mul_f64 v[30:31], v[30:31], s[8:9]
	v_fma_f64 v[34:35], v[28:29], 0.5, v[30:31]
	v_add_f64 v[28:29], v[44:45], v[32:33]
	v_add_f64 v[32:33], v[44:45], -v[32:33]
	v_fma_f64 v[44:45], v[40:41], s[6:7], v[116:117]
	v_mul_f64 v[40:41], v[36:37], -0.5
	v_add_f64 v[30:31], v[120:121], v[34:35]
	v_add_f64 v[34:35], v[120:121], -v[34:35]
	v_fma_f64 v[40:41], v[38:39], s[6:7], v[40:41]
	v_mul_f64 v[38:39], v[38:39], -0.5
	v_fma_f64 v[46:47], v[36:37], s[8:9], v[38:39]
	v_add_f64 v[36:37], v[42:43], v[40:41]
	v_add_f64 v[40:41], v[42:43], -v[40:41]
	v_add_f64 v[38:39], v[44:45], v[46:47]
	v_add_f64 v[42:43], v[44:45], -v[46:47]
	v_mul_u32_u24_e32 v44, 0xd8, v88
	v_add_lshl_u32 v123, v44, v89, 4
	ds_write_b128 v123, v[0:3]
	ds_write_b128 v123, v[12:15] offset:576
	ds_write_b128 v123, v[20:23] offset:1152
	;; [unrolled: 1-line block ×5, first 2 shown]
	v_mad_legacy_u16 v0, v90, s26, v91
	v_lshlrev_b32_e32 v0, 4, v0
	buffer_store_dword v0, off, s[36:39], 0 offset:1068 ; 4-byte Folded Spill
	ds_write_b128 v0, v[24:27]
	ds_write_b128 v0, v[68:71] offset:576
	ds_write_b128 v0, v[76:79] offset:1152
	;; [unrolled: 1-line block ×5, first 2 shown]
	v_mad_legacy_u16 v0, v92, s26, v87
	v_lshlrev_b32_e32 v0, 4, v0
	buffer_store_dword v0, off, s[36:39], 0 offset:1064 ; 4-byte Folded Spill
	ds_write_b128 v0, v[99:102]
	ds_write_b128 v0, v[48:51] offset:576
	ds_write_b128 v0, v[56:59] offset:1152
	;; [unrolled: 1-line block ×5, first 2 shown]
	v_mad_legacy_u16 v0, v93, s26, v94
	v_mad_u64_u32 v[4:5], s[26:27], v124, 48, s[10:11]
	v_lshlrev_b32_e32 v0, 4, v0
	buffer_store_dword v0, off, s[36:39], 0 offset:992 ; 4-byte Folded Spill
	ds_write_b128 v0, v[64:67]
	ds_write_b128 v0, v[28:31] offset:576
	ds_write_b128 v0, v[36:39] offset:1152
	;; [unrolled: 1-line block ×5, first 2 shown]
	s_waitcnt vmcnt(0) lgkmcnt(0)
	s_barrier
	global_load_dwordx4 v[8:11], v[4:5], off offset:3360
	ds_read_b128 v[0:3], v110 offset:13824
	s_movk_i32 s26, 0x48
	v_cmp_gt_u16_e32 vcc, s26, v124
	s_movk_i32 s26, 0x1aa0
	s_waitcnt vmcnt(0) lgkmcnt(0)
	v_mul_f64 v[6:7], v[2:3], v[10:11]
	v_fma_f64 v[71:72], v[0:1], v[8:9], -v[6:7]
	buffer_store_dword v8, off, s[36:39], 0 offset:996 ; 4-byte Folded Spill
	s_nop 0
	buffer_store_dword v9, off, s[36:39], 0 offset:1000 ; 4-byte Folded Spill
	buffer_store_dword v10, off, s[36:39], 0 offset:1004 ; 4-byte Folded Spill
	;; [unrolled: 1-line block ×3, first 2 shown]
	v_mul_f64 v[0:1], v[0:1], v[10:11]
	v_fma_f64 v[73:74], v[2:3], v[8:9], v[0:1]
	global_load_dwordx4 v[8:11], v[4:5], off offset:3376
	s_waitcnt vmcnt(0)
	buffer_store_dword v8, off, s[36:39], 0 offset:1028 ; 4-byte Folded Spill
	s_nop 0
	buffer_store_dword v9, off, s[36:39], 0 offset:1032 ; 4-byte Folded Spill
	buffer_store_dword v10, off, s[36:39], 0 offset:1036 ; 4-byte Folded Spill
	;; [unrolled: 1-line block ×3, first 2 shown]
	ds_read_b128 v[0:3], v110 offset:27648
	s_waitcnt lgkmcnt(0)
	v_mul_f64 v[6:7], v[2:3], v[10:11]
	v_fma_f64 v[75:76], v[0:1], v[8:9], -v[6:7]
	v_mul_f64 v[0:1], v[0:1], v[10:11]
	v_fma_f64 v[77:78], v[2:3], v[8:9], v[0:1]
	global_load_dwordx4 v[8:11], v[4:5], off offset:3392
	s_waitcnt vmcnt(0)
	buffer_store_dword v8, off, s[36:39], 0 offset:1012 ; 4-byte Folded Spill
	s_nop 0
	buffer_store_dword v9, off, s[36:39], 0 offset:1016 ; 4-byte Folded Spill
	buffer_store_dword v10, off, s[36:39], 0 offset:1020 ; 4-byte Folded Spill
	;; [unrolled: 1-line block ×3, first 2 shown]
	ds_read_b128 v[0:3], v110 offset:41472
	buffer_store_dword v124, off, s[36:39], 0 offset:396 ; 4-byte Folded Spill
	s_waitcnt lgkmcnt(0)
	v_mul_f64 v[6:7], v[2:3], v[10:11]
	v_fma_f64 v[79:80], v[0:1], v[8:9], -v[6:7]
	v_mul_f64 v[0:1], v[0:1], v[10:11]
	v_add_f64 v[101:102], v[71:72], -v[79:80]
	v_fma_f64 v[81:82], v[2:3], v[8:9], v[0:1]
	v_add_u32_e32 v0, 0xffffffb8, v124
	v_cndmask_b32_e32 v66, v0, v84, vcc
	v_mul_i32_i24_e32 v1, 48, v66
	v_mul_hi_i32_i24_e32 v0, 48, v66
	v_add_co_u32_e32 v6, vcc, s10, v1
	v_addc_co_u32_e32 v7, vcc, v86, v0, vcc
	global_load_dwordx4 v[252:255], v[6:7], off offset:3360
	global_load_dwordx4 v[236:239], v[6:7], off offset:3376
	;; [unrolled: 1-line block ×3, first 2 shown]
	ds_read_b128 v[0:3], v110 offset:16128
	v_add_f64 v[103:104], v[73:74], -v[81:82]
	v_fma_f64 v[71:72], v[71:72], 2.0, -v[101:102]
	v_fma_f64 v[73:74], v[73:74], 2.0, -v[103:104]
	s_waitcnt vmcnt(2) lgkmcnt(0)
	v_mul_f64 v[8:9], v[2:3], v[254:255]
	v_fma_f64 v[18:19], v[0:1], v[252:253], -v[8:9]
	v_mul_f64 v[0:1], v[0:1], v[254:255]
	v_fma_f64 v[20:21], v[2:3], v[252:253], v[0:1]
	ds_read_b128 v[0:3], v110 offset:29952
	s_waitcnt vmcnt(1) lgkmcnt(0)
	v_mul_f64 v[8:9], v[2:3], v[238:239]
	v_fma_f64 v[22:23], v[0:1], v[236:237], -v[8:9]
	v_mul_f64 v[0:1], v[0:1], v[238:239]
	v_fma_f64 v[24:25], v[2:3], v[236:237], v[0:1]
	ds_read_b128 v[0:3], v110 offset:43776
	s_waitcnt vmcnt(0) lgkmcnt(0)
	v_mul_f64 v[6:7], v[2:3], v[234:235]
	v_fma_f64 v[26:27], v[0:1], v[232:233], -v[6:7]
	v_mul_f64 v[0:1], v[0:1], v[234:235]
	v_add_f64 v[26:27], v[18:19], -v[26:27]
	v_fma_f64 v[28:29], v[2:3], v[232:233], v[0:1]
	v_add_co_u32_e32 v0, vcc, s19, v4
	v_addc_co_u32_e32 v1, vcc, 0, v5, vcc
	global_load_dwordx4 v[224:227], v[0:1], off offset:2720
	v_add_co_u32_e32 v14, vcc, s26, v4
	v_addc_co_u32_e32 v15, vcc, 0, v5, vcc
	global_load_dwordx4 v[220:223], v[14:15], off offset:16
	global_load_dwordx4 v[216:219], v[14:15], off offset:32
	ds_read_b128 v[0:3], v110 offset:18432
	v_add_f64 v[28:29], v[20:21], -v[28:29]
	v_fma_f64 v[18:19], v[18:19], 2.0, -v[26:27]
	s_movk_i32 s26, 0x47
	v_fma_f64 v[20:21], v[20:21], 2.0, -v[28:29]
	s_waitcnt vmcnt(2) lgkmcnt(0)
	v_mul_f64 v[6:7], v[2:3], v[226:227]
	v_fma_f64 v[6:7], v[0:1], v[224:225], -v[6:7]
	v_mul_f64 v[0:1], v[0:1], v[226:227]
	v_fma_f64 v[8:9], v[2:3], v[224:225], v[0:1]
	ds_read_b128 v[0:3], v110 offset:32256
	s_waitcnt vmcnt(1) lgkmcnt(0)
	v_mul_f64 v[10:11], v[2:3], v[222:223]
	v_fma_f64 v[10:11], v[0:1], v[220:221], -v[10:11]
	v_mul_f64 v[0:1], v[0:1], v[222:223]
	v_fma_f64 v[12:13], v[2:3], v[220:221], v[0:1]
	ds_read_b128 v[0:3], v110 offset:46080
	s_waitcnt vmcnt(0) lgkmcnt(0)
	v_mul_f64 v[14:15], v[2:3], v[218:219]
	v_fma_f64 v[14:15], v[0:1], v[216:217], -v[14:15]
	v_mul_f64 v[0:1], v[0:1], v[218:219]
	v_add_f64 v[14:15], v[6:7], -v[14:15]
	v_fma_f64 v[16:17], v[2:3], v[216:217], v[0:1]
	v_lshrrev_b16_e32 v0, 3, v85
	v_mul_u32_u24_e32 v0, 0x12f7, v0
	v_lshrrev_b32_e32 v0, 17, v0
	v_mul_lo_u16_e32 v0, 0xd8, v0
	v_sub_u16_e32 v67, v85, v0
	v_mul_lo_u16_e32 v0, 48, v67
	v_add_co_u32_e32 v34, vcc, s10, v0
	v_addc_co_u32_e32 v35, vcc, 0, v86, vcc
	global_load_dwordx4 v[212:215], v[34:35], off offset:3360
	global_load_dwordx4 v[208:211], v[34:35], off offset:3376
	;; [unrolled: 1-line block ×3, first 2 shown]
	ds_read_b128 v[0:3], v110 offset:20736
	v_add_f64 v[16:17], v[8:9], -v[16:17]
	v_fma_f64 v[6:7], v[6:7], 2.0, -v[14:15]
	v_fma_f64 v[8:9], v[8:9], 2.0, -v[16:17]
	s_waitcnt vmcnt(2) lgkmcnt(0)
	v_mul_f64 v[30:31], v[2:3], v[214:215]
	v_fma_f64 v[30:31], v[0:1], v[212:213], -v[30:31]
	v_mul_f64 v[0:1], v[0:1], v[214:215]
	v_fma_f64 v[32:33], v[2:3], v[212:213], v[0:1]
	ds_read_b128 v[0:3], v110 offset:34560
	s_waitcnt vmcnt(1) lgkmcnt(0)
	v_mul_f64 v[36:37], v[2:3], v[210:211]
	v_fma_f64 v[38:39], v[0:1], v[208:209], -v[36:37]
	v_mul_f64 v[0:1], v[0:1], v[210:211]
	v_fma_f64 v[40:41], v[2:3], v[208:209], v[0:1]
	ds_read_b128 v[0:3], v110 offset:48384
	s_waitcnt vmcnt(0) lgkmcnt(0)
	v_mul_f64 v[34:35], v[2:3], v[206:207]
	v_fma_f64 v[42:43], v[0:1], v[204:205], -v[34:35]
	v_mul_f64 v[0:1], v[0:1], v[206:207]
	v_fma_f64 v[44:45], v[2:3], v[204:205], v[0:1]
	v_add_u16_e32 v0, 0x240, v124
	v_lshrrev_b16_e32 v1, 3, v0
	v_mul_u32_u24_e32 v1, 0x12f7, v1
	v_lshrrev_b32_e32 v68, 17, v1
	v_mul_lo_u16_e32 v1, 0xd8, v68
	v_sub_u16_e32 v69, v0, v1
	v_mul_lo_u16_e32 v0, 48, v69
	v_add_co_u32_e32 v46, vcc, s10, v0
	v_addc_co_u32_e32 v47, vcc, 0, v86, vcc
	global_load_dwordx4 v[200:203], v[46:47], off offset:3360
	global_load_dwordx4 v[196:199], v[46:47], off offset:3376
	global_load_dwordx4 v[192:195], v[46:47], off offset:3392
	ds_read_b128 v[0:3], v110 offset:23040
	s_waitcnt vmcnt(2) lgkmcnt(0)
	v_mul_f64 v[34:35], v[2:3], v[202:203]
	v_fma_f64 v[34:35], v[0:1], v[200:201], -v[34:35]
	v_mul_f64 v[0:1], v[0:1], v[202:203]
	v_fma_f64 v[36:37], v[2:3], v[200:201], v[0:1]
	ds_read_b128 v[0:3], v110 offset:36864
	s_waitcnt vmcnt(1) lgkmcnt(0)
	v_mul_f64 v[48:49], v[2:3], v[198:199]
	v_fma_f64 v[50:51], v[0:1], v[196:197], -v[48:49]
	v_mul_f64 v[0:1], v[0:1], v[198:199]
	v_fma_f64 v[52:53], v[2:3], v[196:197], v[0:1]
	;; [unrolled: 6-line block ×3, first 2 shown]
	v_add_u16_e32 v0, 0x2d0, v124
	v_lshrrev_b16_e32 v1, 3, v0
	v_mul_u32_u24_e32 v1, 0x12f7, v1
	v_lshrrev_b32_e32 v1, 17, v1
	v_mul_lo_u16_e32 v1, 0xd8, v1
	v_sub_u16_e32 v70, v0, v1
	v_mul_lo_u16_e32 v0, 48, v70
	v_add_co_u32_e32 v62, vcc, s10, v0
	v_addc_co_u32_e32 v63, vcc, 0, v86, vcc
	global_load_dwordx4 v[188:191], v[62:63], off offset:3360
	global_load_dwordx4 v[184:187], v[62:63], off offset:3376
	;; [unrolled: 1-line block ×3, first 2 shown]
	ds_read_b128 v[0:3], v110 offset:25344
	v_cmp_lt_u16_e32 vcc, s26, v124
	s_movk_i32 s26, 0x360
	s_waitcnt vmcnt(2) lgkmcnt(0)
	v_mul_f64 v[46:47], v[2:3], v[190:191]
	v_fma_f64 v[46:47], v[0:1], v[188:189], -v[46:47]
	v_mul_f64 v[0:1], v[0:1], v[190:191]
	v_fma_f64 v[48:49], v[2:3], v[188:189], v[0:1]
	ds_read_b128 v[0:3], v110 offset:39168
	s_waitcnt vmcnt(1) lgkmcnt(0)
	v_mul_f64 v[58:59], v[2:3], v[186:187]
	v_fma_f64 v[58:59], v[0:1], v[184:185], -v[58:59]
	v_mul_f64 v[0:1], v[0:1], v[186:187]
	v_fma_f64 v[60:61], v[2:3], v[184:185], v[0:1]
	ds_read_b128 v[0:3], v110 offset:52992
	s_waitcnt vmcnt(0) lgkmcnt(0)
	v_mul_f64 v[62:63], v[2:3], v[182:183]
	v_fma_f64 v[62:63], v[0:1], v[180:181], -v[62:63]
	v_mul_f64 v[0:1], v[0:1], v[182:183]
	v_fma_f64 v[64:65], v[2:3], v[180:181], v[0:1]
	ds_read_b128 v[0:3], v110
	s_waitcnt lgkmcnt(0)
	v_add_f64 v[97:98], v[0:1], -v[75:76]
	v_add_f64 v[99:100], v[2:3], -v[77:78]
	v_fma_f64 v[0:1], v[0:1], 2.0, -v[97:98]
	v_fma_f64 v[2:3], v[2:3], 2.0, -v[99:100]
	v_add_f64 v[71:72], v[0:1], -v[71:72]
	v_add_f64 v[73:74], v[2:3], -v[73:74]
	v_fma_f64 v[75:76], v[0:1], 2.0, -v[71:72]
	v_fma_f64 v[77:78], v[2:3], 2.0, -v[73:74]
	ds_read_b128 v[79:82], v110 offset:2304
	ds_read_b128 v[85:88], v110 offset:4608
	;; [unrolled: 1-line block ×5, first 2 shown]
	s_waitcnt lgkmcnt(0)
	s_barrier
	ds_write_b128 v110, v[75:78]
	v_add_f64 v[75:76], v[97:98], -v[103:104]
	v_add_f64 v[77:78], v[99:100], v[101:102]
	v_fma_f64 v[97:98], v[97:98], 2.0, -v[75:76]
	v_fma_f64 v[99:100], v[99:100], 2.0, -v[77:78]
	ds_write_b128 v110, v[97:100] offset:3456
	ds_write_b128 v110, v[71:74] offset:6912
	;; [unrolled: 1-line block ×3, first 2 shown]
	v_add_f64 v[71:72], v[79:80], -v[22:23]
	v_add_f64 v[73:74], v[81:82], -v[24:25]
	v_mov_b32_e32 v75, 0x360
	v_cndmask_b32_e32 v75, 0, v75, vcc
	v_add_lshl_u32 v66, v66, v75, 4
	buffer_store_dword v66, off, s[36:39], 0 offset:1084 ; 4-byte Folded Spill
	v_fma_f64 v[22:23], v[79:80], 2.0, -v[71:72]
	v_fma_f64 v[24:25], v[81:82], 2.0, -v[73:74]
	v_add_f64 v[18:19], v[22:23], -v[18:19]
	v_add_f64 v[20:21], v[24:25], -v[20:21]
	v_fma_f64 v[22:23], v[22:23], 2.0, -v[18:19]
	v_fma_f64 v[24:25], v[24:25], 2.0, -v[20:21]
	ds_write_b128 v66, v[22:25]
	v_add_f64 v[22:23], v[71:72], -v[28:29]
	v_add_f64 v[24:25], v[73:74], v[26:27]
	v_fma_f64 v[26:27], v[71:72], 2.0, -v[22:23]
	v_fma_f64 v[28:29], v[73:74], 2.0, -v[24:25]
	ds_write_b128 v66, v[26:29] offset:3456
	ds_write_b128 v66, v[18:21] offset:6912
	;; [unrolled: 1-line block ×3, first 2 shown]
	v_add_f64 v[18:19], v[85:86], -v[10:11]
	v_add_f64 v[20:21], v[87:88], -v[12:13]
	v_lshlrev_b32_e32 v22, 4, v67
	v_fma_f64 v[10:11], v[85:86], 2.0, -v[18:19]
	v_fma_f64 v[12:13], v[87:88], 2.0, -v[20:21]
	v_add_f64 v[6:7], v[10:11], -v[6:7]
	v_add_f64 v[8:9], v[12:13], -v[8:9]
	v_fma_f64 v[10:11], v[10:11], 2.0, -v[6:7]
	v_fma_f64 v[12:13], v[12:13], 2.0, -v[8:9]
	ds_write_b128 v110, v[10:13] offset:14976
	v_add_f64 v[10:11], v[18:19], -v[16:17]
	v_add_f64 v[12:13], v[20:21], v[14:15]
	v_fma_f64 v[14:15], v[18:19], 2.0, -v[10:11]
	v_fma_f64 v[16:17], v[20:21], 2.0, -v[12:13]
	ds_write_b128 v110, v[14:17] offset:18432
	ds_write_b128 v110, v[6:9] offset:21888
	;; [unrolled: 1-line block ×3, first 2 shown]
	v_add_f64 v[14:15], v[89:90], -v[38:39]
	v_add_f64 v[16:17], v[91:92], -v[40:41]
	v_add_f64 v[18:19], v[30:31], -v[42:43]
	v_add_f64 v[20:21], v[32:33], -v[44:45]
	buffer_store_dword v22, off, s[36:39], 0 offset:1072 ; 4-byte Folded Spill
	v_fma_f64 v[10:11], v[89:90], 2.0, -v[14:15]
	v_fma_f64 v[12:13], v[91:92], 2.0, -v[16:17]
	;; [unrolled: 1-line block ×4, first 2 shown]
	v_add_f64 v[6:7], v[10:11], -v[6:7]
	v_add_f64 v[8:9], v[12:13], -v[8:9]
	v_fma_f64 v[10:11], v[10:11], 2.0, -v[6:7]
	v_fma_f64 v[12:13], v[12:13], 2.0, -v[8:9]
	ds_write_b128 v22, v[10:13] offset:27648
	v_add_f64 v[10:11], v[14:15], -v[20:21]
	v_add_f64 v[12:13], v[16:17], v[18:19]
	v_add_f64 v[18:19], v[34:35], -v[54:55]
	v_add_f64 v[20:21], v[36:37], -v[56:57]
	v_mad_u64_u32 v[54:55], s[10:11], v84, 48, s[10:11]
	s_movk_i32 s10, 0x50a0
	v_fma_f64 v[14:15], v[14:15], 2.0, -v[10:11]
	v_fma_f64 v[16:17], v[16:17], 2.0, -v[12:13]
	ds_write_b128 v22, v[14:17] offset:31104
	v_add_f64 v[14:15], v[93:94], -v[50:51]
	v_add_f64 v[16:17], v[95:96], -v[52:53]
	ds_write_b128 v22, v[6:9] offset:34560
	ds_write_b128 v22, v[10:13] offset:38016
	v_fma_f64 v[6:7], v[34:35], 2.0, -v[18:19]
	v_fma_f64 v[8:9], v[36:37], 2.0, -v[20:21]
	v_mad_legacy_u16 v22, v68, s26, v69
	v_lshlrev_b32_e32 v22, 4, v22
	buffer_store_dword v22, off, s[36:39], 0 offset:1076 ; 4-byte Folded Spill
	v_fma_f64 v[10:11], v[93:94], 2.0, -v[14:15]
	v_fma_f64 v[12:13], v[95:96], 2.0, -v[16:17]
	s_movk_i32 s26, 0x35a0
	v_add_f64 v[6:7], v[10:11], -v[6:7]
	v_add_f64 v[8:9], v[12:13], -v[8:9]
	v_fma_f64 v[10:11], v[10:11], 2.0, -v[6:7]
	v_fma_f64 v[12:13], v[12:13], 2.0, -v[8:9]
	ds_write_b128 v22, v[10:13]
	v_add_f64 v[10:11], v[14:15], -v[20:21]
	v_add_f64 v[12:13], v[16:17], v[18:19]
	v_lshlrev_b32_e32 v18, 4, v70
	v_fma_f64 v[14:15], v[14:15], 2.0, -v[10:11]
	v_fma_f64 v[16:17], v[16:17], 2.0, -v[12:13]
	ds_write_b128 v22, v[14:17] offset:3456
	ds_write_b128 v22, v[6:9] offset:6912
	;; [unrolled: 1-line block ×3, first 2 shown]
	v_add_f64 v[10:11], v[0:1], -v[58:59]
	v_add_f64 v[12:13], v[2:3], -v[60:61]
	;; [unrolled: 1-line block ×4, first 2 shown]
	buffer_store_dword v18, off, s[36:39], 0 offset:1080 ; 4-byte Folded Spill
	v_fma_f64 v[6:7], v[0:1], 2.0, -v[10:11]
	v_fma_f64 v[8:9], v[2:3], 2.0, -v[12:13]
	;; [unrolled: 1-line block ×4, first 2 shown]
	v_add_f64 v[0:1], v[6:7], -v[0:1]
	v_add_f64 v[2:3], v[8:9], -v[2:3]
	v_fma_f64 v[6:7], v[6:7], 2.0, -v[0:1]
	v_fma_f64 v[8:9], v[8:9], 2.0, -v[2:3]
	ds_write_b128 v18, v[6:9] offset:41472
	v_add_f64 v[6:7], v[10:11], -v[16:17]
	v_add_f64 v[8:9], v[12:13], v[14:15]
	v_fma_f64 v[10:11], v[10:11], 2.0, -v[6:7]
	v_fma_f64 v[12:13], v[12:13], 2.0, -v[8:9]
	ds_write_b128 v18, v[10:13] offset:44928
	ds_write_b128 v18, v[0:3] offset:48384
	;; [unrolled: 1-line block ×3, first 2 shown]
	v_add_co_u32_e32 v0, vcc, s20, v4
	v_addc_co_u32_e32 v1, vcc, 0, v5, vcc
	s_waitcnt vmcnt(0) lgkmcnt(0)
	s_barrier
	global_load_dwordx4 v[168:171], v[0:1], off offset:1440
	v_add_co_u32_e32 v4, vcc, s26, v4
	v_addc_co_u32_e32 v5, vcc, 0, v5, vcc
	global_load_dwordx4 v[172:175], v[4:5], off offset:16
	global_load_dwordx4 v[176:179], v[4:5], off offset:32
	ds_read_b128 v[0:3], v110 offset:13824
	ds_read_b128 v[24:27], v110 offset:46080
	;; [unrolled: 1-line block ×3, first 2 shown]
	s_waitcnt vmcnt(2) lgkmcnt(2)
	v_mul_f64 v[6:7], v[2:3], v[170:171]
	v_fma_f64 v[64:65], v[0:1], v[168:169], -v[6:7]
	v_mul_f64 v[0:1], v[0:1], v[170:171]
	v_fma_f64 v[66:67], v[2:3], v[168:169], v[0:1]
	ds_read_b128 v[0:3], v110 offset:27648
	s_waitcnt vmcnt(1) lgkmcnt(0)
	v_mul_f64 v[6:7], v[2:3], v[174:175]
	v_fma_f64 v[68:69], v[0:1], v[172:173], -v[6:7]
	v_mul_f64 v[0:1], v[0:1], v[174:175]
	v_fma_f64 v[70:71], v[2:3], v[172:173], v[0:1]
	ds_read_b128 v[0:3], v110 offset:41472
	s_waitcnt vmcnt(0) lgkmcnt(0)
	v_mul_f64 v[4:5], v[2:3], v[178:179]
	v_fma_f64 v[72:73], v[0:1], v[176:177], -v[4:5]
	v_mul_f64 v[0:1], v[0:1], v[178:179]
	v_add_f64 v[72:73], v[64:65], -v[72:73]
	v_fma_f64 v[74:75], v[2:3], v[176:177], v[0:1]
	v_add_co_u32_e32 v0, vcc, s20, v54
	v_addc_co_u32_e32 v1, vcc, 0, v55, vcc
	global_load_dwordx4 v[164:167], v[0:1], off offset:1440
	ds_read_b128 v[0:3], v110 offset:16128
	v_add_f64 v[74:75], v[66:67], -v[74:75]
	s_waitcnt vmcnt(0) lgkmcnt(0)
	v_mul_f64 v[4:5], v[2:3], v[166:167]
	v_fma_f64 v[12:13], v[0:1], v[164:165], -v[4:5]
	v_add_co_u32_e32 v4, vcc, s26, v54
	v_addc_co_u32_e32 v5, vcc, 0, v55, vcc
	global_load_dwordx4 v[156:159], v[4:5], off offset:16
	global_load_dwordx4 v[152:155], v[4:5], off offset:32
	v_mul_f64 v[0:1], v[0:1], v[166:167]
	v_fma_f64 v[14:15], v[2:3], v[164:165], v[0:1]
	ds_read_b128 v[0:3], v110 offset:29952
	s_waitcnt vmcnt(1) lgkmcnt(0)
	v_mul_f64 v[6:7], v[2:3], v[158:159]
	v_fma_f64 v[16:17], v[0:1], v[156:157], -v[6:7]
	v_mul_f64 v[0:1], v[0:1], v[158:159]
	ds_read_b128 v[6:9], v110 offset:32256
	v_fma_f64 v[18:19], v[2:3], v[156:157], v[0:1]
	ds_read_b128 v[0:3], v110 offset:43776
	s_waitcnt vmcnt(0) lgkmcnt(0)
	v_mul_f64 v[4:5], v[2:3], v[154:155]
	v_fma_f64 v[20:21], v[0:1], v[152:153], -v[4:5]
	v_mul_f64 v[0:1], v[0:1], v[154:155]
	v_add_f64 v[20:21], v[12:13], -v[20:21]
	v_fma_f64 v[22:23], v[2:3], v[152:153], v[0:1]
	v_add_co_u32_e32 v0, vcc, s12, v54
	v_addc_co_u32_e32 v1, vcc, 0, v55, vcc
	global_load_dwordx4 v[144:147], v[0:1], off offset:160
	v_add_co_u32_e32 v10, vcc, s10, v54
	v_addc_co_u32_e32 v11, vcc, 0, v55, vcc
	global_load_dwordx4 v[160:163], v[10:11], off offset:16
	global_load_dwordx4 v[148:151], v[10:11], off offset:32
	ds_read_b128 v[2:5], v110 offset:18432
	s_movk_i32 s10, 0x6ba0
	v_add_f64 v[22:23], v[14:15], -v[22:23]
	v_fma_f64 v[12:13], v[12:13], 2.0, -v[20:21]
	v_fma_f64 v[14:15], v[14:15], 2.0, -v[22:23]
	s_waitcnt vmcnt(2) lgkmcnt(0)
	v_mul_f64 v[0:1], v[4:5], v[146:147]
	s_waitcnt vmcnt(0)
	v_mul_f64 v[10:11], v[24:25], v[150:151]
	v_fma_f64 v[0:1], v[2:3], v[144:145], -v[0:1]
	v_mul_f64 v[2:3], v[2:3], v[146:147]
	v_fma_f64 v[10:11], v[26:27], v[148:149], v[10:11]
	v_fma_f64 v[2:3], v[4:5], v[144:145], v[2:3]
	v_mul_f64 v[4:5], v[8:9], v[162:163]
	v_add_f64 v[10:11], v[2:3], -v[10:11]
	v_fma_f64 v[4:5], v[6:7], v[160:161], -v[4:5]
	v_mul_f64 v[6:7], v[6:7], v[162:163]
	v_fma_f64 v[2:3], v[2:3], 2.0, -v[10:11]
	v_fma_f64 v[6:7], v[8:9], v[160:161], v[6:7]
	v_mul_f64 v[8:9], v[26:27], v[150:151]
	v_fma_f64 v[8:9], v[24:25], v[148:149], -v[8:9]
	v_add_co_u32_e32 v24, vcc, s23, v54
	v_addc_co_u32_e32 v25, vcc, 0, v55, vcc
	global_load_dwordx4 v[140:143], v[24:25], off offset:2976
	ds_read_b128 v[24:27], v110 offset:20736
	v_add_f64 v[8:9], v[0:1], -v[8:9]
	v_fma_f64 v[0:1], v[0:1], 2.0, -v[8:9]
	s_waitcnt vmcnt(0) lgkmcnt(0)
	v_mul_f64 v[28:29], v[26:27], v[142:143]
	v_fma_f64 v[34:35], v[24:25], v[140:141], -v[28:29]
	v_add_co_u32_e32 v28, vcc, s10, v54
	v_addc_co_u32_e32 v29, vcc, 0, v55, vcc
	global_load_dwordx4 v[136:139], v[28:29], off offset:16
	global_load_dwordx4 v[128:131], v[28:29], off offset:32
	v_mul_f64 v[24:25], v[24:25], v[142:143]
	s_mov_b32 s10, 0x86a0
	v_fma_f64 v[38:39], v[26:27], v[140:141], v[24:25]
	ds_read_b128 v[24:27], v110 offset:34560
	s_waitcnt vmcnt(1) lgkmcnt(0)
	v_mul_f64 v[30:31], v[26:27], v[138:139]
	v_fma_f64 v[40:41], v[24:25], v[136:137], -v[30:31]
	v_mul_f64 v[24:25], v[24:25], v[138:139]
	ds_read_b128 v[30:33], v110 offset:36864
	v_fma_f64 v[42:43], v[26:27], v[136:137], v[24:25]
	ds_read_b128 v[24:27], v110 offset:48384
	s_waitcnt vmcnt(0) lgkmcnt(0)
	v_mul_f64 v[28:29], v[26:27], v[130:131]
	v_fma_f64 v[44:45], v[24:25], v[128:129], -v[28:29]
	v_mul_f64 v[24:25], v[24:25], v[130:131]
	v_fma_f64 v[46:47], v[26:27], v[128:129], v[24:25]
	v_add_co_u32_e32 v24, vcc, s25, v54
	v_addc_co_u32_e32 v25, vcc, 0, v55, vcc
	global_load_dwordx4 v[119:122], v[24:25], off offset:1696
	v_add_co_u32_e32 v36, vcc, s10, v54
	v_addc_co_u32_e32 v37, vcc, 0, v55, vcc
	global_load_dwordx4 v[132:135], v[36:37], off offset:16
	global_load_dwordx4 v[124:127], v[36:37], off offset:32
	ds_read_b128 v[26:29], v110 offset:23040
	s_mov_b32 s10, 0xa1a0
	s_waitcnt vmcnt(2) lgkmcnt(0)
	v_mul_f64 v[24:25], v[28:29], v[121:122]
	s_waitcnt vmcnt(0)
	v_mul_f64 v[36:37], v[48:49], v[126:127]
	v_fma_f64 v[24:25], v[26:27], v[119:120], -v[24:25]
	v_mul_f64 v[26:27], v[26:27], v[121:122]
	v_fma_f64 v[26:27], v[28:29], v[119:120], v[26:27]
	v_mul_f64 v[28:29], v[32:33], v[134:135]
	v_fma_f64 v[28:29], v[30:31], v[132:133], -v[28:29]
	v_mul_f64 v[30:31], v[30:31], v[134:135]
	v_fma_f64 v[30:31], v[32:33], v[132:133], v[30:31]
	v_mul_f64 v[32:33], v[50:51], v[126:127]
	v_fma_f64 v[32:33], v[48:49], v[124:125], -v[32:33]
	v_add_co_u32_e32 v48, vcc, s21, v54
	v_addc_co_u32_e32 v49, vcc, 0, v55, vcc
	global_load_dwordx4 v[111:114], v[48:49], off offset:416
	v_add_co_u32_e32 v58, vcc, s10, v54
	v_addc_co_u32_e32 v59, vcc, 0, v55, vcc
	global_load_dwordx4 v[104:107], v[58:59], off offset:16
	global_load_dwordx4 v[115:118], v[58:59], off offset:32
	v_fma_f64 v[36:37], v[50:51], v[124:125], v[36:37]
	ds_read_b128 v[50:53], v110 offset:25344
	ds_read_b128 v[54:57], v110 offset:39168
	;; [unrolled: 1-line block ×3, first 2 shown]
	s_waitcnt vmcnt(2) lgkmcnt(2)
	v_mul_f64 v[48:49], v[52:53], v[113:114]
	v_fma_f64 v[48:49], v[50:51], v[111:112], -v[48:49]
	v_mul_f64 v[50:51], v[50:51], v[113:114]
	v_fma_f64 v[50:51], v[52:53], v[111:112], v[50:51]
	s_waitcnt vmcnt(1) lgkmcnt(1)
	v_mul_f64 v[52:53], v[56:57], v[106:107]
	v_fma_f64 v[52:53], v[54:55], v[104:105], -v[52:53]
	v_mul_f64 v[54:55], v[54:55], v[106:107]
	v_fma_f64 v[54:55], v[56:57], v[104:105], v[54:55]
	;; [unrolled: 5-line block ×3, first 2 shown]
	ds_read_b128 v[60:63], v110
	s_waitcnt lgkmcnt(0)
	v_add_f64 v[68:69], v[60:61], -v[68:69]
	v_add_f64 v[70:71], v[62:63], -v[70:71]
	v_fma_f64 v[76:77], v[60:61], 2.0, -v[68:69]
	v_fma_f64 v[78:79], v[62:63], 2.0, -v[70:71]
	;; [unrolled: 1-line block ×4, first 2 shown]
	v_add_f64 v[60:61], v[76:77], -v[60:61]
	v_add_f64 v[62:63], v[78:79], -v[62:63]
	v_fma_f64 v[64:65], v[76:77], 2.0, -v[60:61]
	v_fma_f64 v[66:67], v[78:79], 2.0, -v[62:63]
	ds_write_b128 v110, v[64:67]
	v_add_f64 v[64:65], v[68:69], -v[74:75]
	v_add_f64 v[66:67], v[70:71], v[72:73]
	v_fma_f64 v[68:69], v[68:69], 2.0, -v[64:65]
	v_fma_f64 v[70:71], v[70:71], 2.0, -v[66:67]
	ds_write_b128 v110, v[68:71] offset:13824
	ds_write_b128 v110, v[60:63] offset:27648
	ds_write_b128 v110, v[64:67] offset:41472
	ds_read_b128 v[60:63], v110 offset:2304
	s_waitcnt lgkmcnt(0)
	v_add_f64 v[64:65], v[60:61], -v[16:17]
	v_add_f64 v[66:67], v[62:63], -v[18:19]
	v_fma_f64 v[16:17], v[60:61], 2.0, -v[64:65]
	v_fma_f64 v[18:19], v[62:63], 2.0, -v[66:67]
	v_add_f64 v[12:13], v[16:17], -v[12:13]
	v_add_f64 v[14:15], v[18:19], -v[14:15]
	v_fma_f64 v[16:17], v[16:17], 2.0, -v[12:13]
	v_fma_f64 v[18:19], v[18:19], 2.0, -v[14:15]
	ds_write_b128 v110, v[16:19] offset:2304
	v_add_f64 v[16:17], v[64:65], -v[22:23]
	v_add_f64 v[18:19], v[66:67], v[20:21]
	v_fma_f64 v[20:21], v[64:65], 2.0, -v[16:17]
	v_fma_f64 v[22:23], v[66:67], 2.0, -v[18:19]
	ds_write_b128 v110, v[20:23] offset:16128
	ds_write_b128 v110, v[12:15] offset:29952
	ds_write_b128 v110, v[16:19] offset:43776
	ds_read_b128 v[12:15], v110 offset:4608
	s_waitcnt lgkmcnt(0)
	v_add_f64 v[16:17], v[12:13], -v[4:5]
	v_add_f64 v[18:19], v[14:15], -v[6:7]
	v_fma_f64 v[4:5], v[12:13], 2.0, -v[16:17]
	v_fma_f64 v[6:7], v[14:15], 2.0, -v[18:19]
	v_add_f64 v[12:13], v[34:35], -v[44:45]
	v_add_f64 v[14:15], v[38:39], -v[46:47]
	;; [unrolled: 1-line block ×4, first 2 shown]
	v_fma_f64 v[4:5], v[4:5], 2.0, -v[0:1]
	v_fma_f64 v[6:7], v[6:7], 2.0, -v[2:3]
	ds_write_b128 v110, v[4:7] offset:4608
	v_add_f64 v[4:5], v[16:17], -v[10:11]
	v_add_f64 v[6:7], v[18:19], v[8:9]
	v_fma_f64 v[8:9], v[16:17], 2.0, -v[4:5]
	v_fma_f64 v[10:11], v[18:19], 2.0, -v[6:7]
	ds_write_b128 v110, v[8:11] offset:18432
	ds_write_b128 v110, v[0:3] offset:32256
	;; [unrolled: 1-line block ×3, first 2 shown]
	ds_read_b128 v[0:3], v110 offset:6912
	s_waitcnt lgkmcnt(0)
	v_add_f64 v[8:9], v[0:1], -v[40:41]
	v_add_f64 v[10:11], v[2:3], -v[42:43]
	v_fma_f64 v[4:5], v[0:1], 2.0, -v[8:9]
	v_fma_f64 v[6:7], v[2:3], 2.0, -v[10:11]
	v_fma_f64 v[0:1], v[34:35], 2.0, -v[12:13]
	v_fma_f64 v[2:3], v[38:39], 2.0, -v[14:15]
	v_add_f64 v[0:1], v[4:5], -v[0:1]
	v_add_f64 v[2:3], v[6:7], -v[2:3]
	v_fma_f64 v[4:5], v[4:5], 2.0, -v[0:1]
	v_fma_f64 v[6:7], v[6:7], 2.0, -v[2:3]
	ds_write_b128 v110, v[4:7] offset:6912
	v_add_f64 v[4:5], v[8:9], -v[14:15]
	v_add_f64 v[6:7], v[10:11], v[12:13]
	v_add_f64 v[12:13], v[24:25], -v[32:33]
	v_add_f64 v[14:15], v[26:27], -v[36:37]
	v_fma_f64 v[8:9], v[8:9], 2.0, -v[4:5]
	v_fma_f64 v[10:11], v[10:11], 2.0, -v[6:7]
	ds_write_b128 v110, v[8:11] offset:20736
	ds_write_b128 v110, v[0:3] offset:34560
	;; [unrolled: 1-line block ×3, first 2 shown]
	ds_read_b128 v[0:3], v110 offset:9216
	s_waitcnt lgkmcnt(0)
	v_add_f64 v[8:9], v[0:1], -v[28:29]
	v_add_f64 v[10:11], v[2:3], -v[30:31]
	v_fma_f64 v[4:5], v[0:1], 2.0, -v[8:9]
	v_fma_f64 v[6:7], v[2:3], 2.0, -v[10:11]
	;; [unrolled: 1-line block ×4, first 2 shown]
	v_add_f64 v[0:1], v[4:5], -v[0:1]
	v_add_f64 v[2:3], v[6:7], -v[2:3]
	v_fma_f64 v[4:5], v[4:5], 2.0, -v[0:1]
	v_fma_f64 v[6:7], v[6:7], 2.0, -v[2:3]
	ds_write_b128 v110, v[4:7] offset:9216
	v_add_f64 v[4:5], v[8:9], -v[14:15]
	v_add_f64 v[6:7], v[10:11], v[12:13]
	v_add_f64 v[12:13], v[48:49], -v[56:57]
	v_add_f64 v[14:15], v[50:51], -v[58:59]
	v_fma_f64 v[8:9], v[8:9], 2.0, -v[4:5]
	v_fma_f64 v[10:11], v[10:11], 2.0, -v[6:7]
	ds_write_b128 v110, v[8:11] offset:23040
	ds_write_b128 v110, v[0:3] offset:36864
	ds_write_b128 v110, v[4:7] offset:50688
	ds_read_b128 v[0:3], v110 offset:11520
	s_waitcnt lgkmcnt(0)
	v_add_f64 v[8:9], v[0:1], -v[52:53]
	v_add_f64 v[10:11], v[2:3], -v[54:55]
	v_fma_f64 v[4:5], v[0:1], 2.0, -v[8:9]
	v_fma_f64 v[6:7], v[2:3], 2.0, -v[10:11]
	;; [unrolled: 1-line block ×4, first 2 shown]
	v_add_f64 v[0:1], v[4:5], -v[0:1]
	v_add_f64 v[2:3], v[6:7], -v[2:3]
	v_fma_f64 v[4:5], v[4:5], 2.0, -v[0:1]
	v_fma_f64 v[6:7], v[6:7], 2.0, -v[2:3]
	ds_write_b128 v110, v[4:7] offset:11520
	v_add_f64 v[4:5], v[8:9], -v[14:15]
	v_add_f64 v[6:7], v[10:11], v[12:13]
	v_add_co_u32_e32 v12, vcc, s14, v110
	v_fma_f64 v[8:9], v[8:9], 2.0, -v[4:5]
	v_fma_f64 v[10:11], v[10:11], 2.0, -v[6:7]
	ds_write_b128 v110, v[8:11] offset:25344
	ds_write_b128 v110, v[0:3] offset:39168
	;; [unrolled: 1-line block ×3, first 2 shown]
	s_waitcnt lgkmcnt(0)
	s_barrier
	global_load_dwordx4 v[0:3], v110, s[14:15]
	ds_read_b128 v[4:7], v110
	s_waitcnt vmcnt(0) lgkmcnt(0)
	v_mul_f64 v[8:9], v[6:7], v[2:3]
	v_mul_f64 v[2:3], v[4:5], v[2:3]
	v_fma_f64 v[100:101], v[4:5], v[0:1], -v[8:9]
	v_fma_f64 v[102:103], v[6:7], v[0:1], v[2:3]
	v_mov_b32_e32 v0, s15
	v_addc_co_u32_e32 v13, vcc, 0, v0, vcc
	v_add_co_u32_e32 v8, vcc, s16, v12
	v_addc_co_u32_e32 v9, vcc, 0, v13, vcc
	global_load_dwordx4 v[0:3], v[8:9], off offset:1024
	ds_read_b128 v[4:7], v110 offset:9216
	s_waitcnt vmcnt(0) lgkmcnt(0)
	v_mul_f64 v[10:11], v[6:7], v[2:3]
	v_mul_f64 v[2:3], v[4:5], v[2:3]
	v_fma_f64 v[96:97], v[4:5], v[0:1], -v[10:11]
	v_fma_f64 v[98:99], v[6:7], v[0:1], v[2:3]
	v_add_co_u32_e32 v0, vcc, s17, v12
	v_addc_co_u32_e32 v1, vcc, 0, v13, vcc
	global_load_dwordx4 v[0:3], v[0:1], off offset:2048
	ds_read_b128 v[4:7], v110 offset:18432
	v_add_co_u32_e32 v20, vcc, s23, v12
	v_addc_co_u32_e32 v21, vcc, 0, v13, vcc
	s_waitcnt vmcnt(0) lgkmcnt(0)
	v_mul_f64 v[10:11], v[6:7], v[2:3]
	v_mul_f64 v[2:3], v[4:5], v[2:3]
	v_fma_f64 v[92:93], v[4:5], v[0:1], -v[10:11]
	v_fma_f64 v[94:95], v[6:7], v[0:1], v[2:3]
	global_load_dwordx4 v[0:3], v[20:21], off offset:3072
	ds_read_b128 v[4:7], v110 offset:27648
	s_waitcnt vmcnt(0) lgkmcnt(0)
	v_mul_f64 v[10:11], v[6:7], v[2:3]
	v_mul_f64 v[2:3], v[4:5], v[2:3]
	v_fma_f64 v[88:89], v[4:5], v[0:1], -v[10:11]
	v_fma_f64 v[90:91], v[6:7], v[0:1], v[2:3]
	buffer_load_dword v0, off, s[36:39], 0 offset:408 ; 4-byte Folded Reload
	ds_read_b128 v[4:7], v110 offset:36864
	s_waitcnt vmcnt(0)
	global_load_dwordx4 v[0:3], v0, s[14:15]
	s_waitcnt vmcnt(0) lgkmcnt(0)
	v_mul_f64 v[10:11], v[6:7], v[2:3]
	v_mul_f64 v[2:3], v[4:5], v[2:3]
	v_fma_f64 v[84:85], v[4:5], v[0:1], -v[10:11]
	v_add_co_u32_e32 v10, vcc, s24, v12
	v_addc_co_u32_e32 v11, vcc, 0, v13, vcc
	v_fma_f64 v[86:87], v[6:7], v[0:1], v[2:3]
	global_load_dwordx4 v[0:3], v[10:11], off offset:1024
	ds_read_b128 v[4:7], v110 offset:46080
	s_waitcnt vmcnt(0) lgkmcnt(0)
	v_mul_f64 v[14:15], v[6:7], v[2:3]
	v_mul_f64 v[2:3], v[4:5], v[2:3]
	v_fma_f64 v[80:81], v[4:5], v[0:1], -v[14:15]
	v_fma_f64 v[82:83], v[6:7], v[0:1], v[2:3]
	global_load_dwordx4 v[0:3], v110, s[14:15] offset:2304
	ds_read_b128 v[4:7], v110 offset:2304
	s_waitcnt vmcnt(0) lgkmcnt(0)
	v_mul_f64 v[14:15], v[6:7], v[2:3]
	v_mul_f64 v[2:3], v[4:5], v[2:3]
	v_fma_f64 v[76:77], v[4:5], v[0:1], -v[14:15]
	v_fma_f64 v[78:79], v[6:7], v[0:1], v[2:3]
	global_load_dwordx4 v[0:3], v[8:9], off offset:3328
	ds_read_b128 v[4:7], v110 offset:11520
	s_waitcnt vmcnt(0) lgkmcnt(0)
	v_mul_f64 v[8:9], v[6:7], v[2:3]
	v_mul_f64 v[2:3], v[4:5], v[2:3]
	v_fma_f64 v[72:73], v[4:5], v[0:1], -v[8:9]
	v_add_co_u32_e32 v8, vcc, s12, v12
	v_addc_co_u32_e32 v9, vcc, 0, v13, vcc
	v_fma_f64 v[74:75], v[6:7], v[0:1], v[2:3]
	global_load_dwordx4 v[0:3], v[8:9], off offset:256
	ds_read_b128 v[4:7], v110 offset:20736
	s_waitcnt vmcnt(0) lgkmcnt(0)
	v_mul_f64 v[14:15], v[6:7], v[2:3]
	v_mul_f64 v[2:3], v[4:5], v[2:3]
	v_fma_f64 v[68:69], v[4:5], v[0:1], -v[14:15]
	v_add_co_u32_e32 v14, vcc, s13, v12
	v_addc_co_u32_e32 v15, vcc, 0, v13, vcc
	v_fma_f64 v[70:71], v[6:7], v[0:1], v[2:3]
	global_load_dwordx4 v[0:3], v[14:15], off offset:1280
	ds_read_b128 v[4:7], v110 offset:29952
	s_waitcnt vmcnt(0) lgkmcnt(0)
	v_mul_f64 v[16:17], v[6:7], v[2:3]
	v_mul_f64 v[2:3], v[4:5], v[2:3]
	v_fma_f64 v[64:65], v[4:5], v[0:1], -v[16:17]
	v_fma_f64 v[66:67], v[6:7], v[0:1], v[2:3]
	v_add_co_u32_e32 v0, vcc, s18, v12
	v_addc_co_u32_e32 v1, vcc, 0, v13, vcc
	global_load_dwordx4 v[0:3], v[0:1], off offset:2304
	ds_read_b128 v[4:7], v110 offset:39168
	s_waitcnt vmcnt(0) lgkmcnt(0)
	v_mul_f64 v[16:17], v[6:7], v[2:3]
	v_mul_f64 v[2:3], v[4:5], v[2:3]
	v_fma_f64 v[60:61], v[4:5], v[0:1], -v[16:17]
	v_fma_f64 v[62:63], v[6:7], v[0:1], v[2:3]
	global_load_dwordx4 v[0:3], v[10:11], off offset:3328
	ds_read_b128 v[4:7], v110 offset:48384
	v_add_co_u32_e32 v16, vcc, s19, v12
	v_addc_co_u32_e32 v17, vcc, 0, v13, vcc
	v_add_co_u32_e32 v18, vcc, s20, v12
	v_addc_co_u32_e32 v19, vcc, 0, v13, vcc
	;; [unrolled: 2-line block ×3, first 2 shown]
	s_waitcnt vmcnt(0) lgkmcnt(0)
	v_mul_f64 v[10:11], v[6:7], v[2:3]
	v_mul_f64 v[2:3], v[4:5], v[2:3]
	v_fma_f64 v[56:57], v[4:5], v[0:1], -v[10:11]
	v_fma_f64 v[58:59], v[6:7], v[0:1], v[2:3]
	global_load_dwordx4 v[0:3], v[16:17], off offset:512
	ds_read_b128 v[4:7], v110 offset:4608
	s_waitcnt vmcnt(0) lgkmcnt(0)
	v_mul_f64 v[10:11], v[6:7], v[2:3]
	v_mul_f64 v[2:3], v[4:5], v[2:3]
	v_fma_f64 v[52:53], v[4:5], v[0:1], -v[10:11]
	v_fma_f64 v[54:55], v[6:7], v[0:1], v[2:3]
	global_load_dwordx4 v[0:3], v[18:19], off offset:1536
	ds_read_b128 v[4:7], v110 offset:13824
	;; [unrolled: 7-line block ×3, first 2 shown]
	v_add_co_u32_e32 v10, vcc, s22, v12
	v_addc_co_u32_e32 v11, vcc, 0, v13, vcc
	s_waitcnt vmcnt(0) lgkmcnt(0)
	v_mul_f64 v[8:9], v[6:7], v[2:3]
	v_mul_f64 v[2:3], v[4:5], v[2:3]
	v_fma_f64 v[44:45], v[4:5], v[0:1], -v[8:9]
	v_fma_f64 v[46:47], v[6:7], v[0:1], v[2:3]
	global_load_dwordx4 v[0:3], v[14:15], off offset:3584
	ds_read_b128 v[4:7], v110 offset:32256
	s_waitcnt vmcnt(0) lgkmcnt(0)
	v_mul_f64 v[8:9], v[6:7], v[2:3]
	v_mul_f64 v[2:3], v[4:5], v[2:3]
	v_fma_f64 v[40:41], v[4:5], v[0:1], -v[8:9]
	v_fma_f64 v[42:43], v[6:7], v[0:1], v[2:3]
	global_load_dwordx4 v[0:3], v[108:109], off offset:512
	ds_read_b128 v[4:7], v110 offset:41472
	s_waitcnt vmcnt(0) lgkmcnt(0)
	v_mul_f64 v[8:9], v[6:7], v[2:3]
	v_mul_f64 v[2:3], v[4:5], v[2:3]
	v_fma_f64 v[36:37], v[4:5], v[0:1], -v[8:9]
	v_fma_f64 v[38:39], v[6:7], v[0:1], v[2:3]
	global_load_dwordx4 v[2:5], v[10:11], off offset:1536
	ds_read_b128 v[6:9], v110 offset:50688
	s_waitcnt vmcnt(0) lgkmcnt(0)
	v_mul_f64 v[0:1], v[8:9], v[4:5]
	v_mul_f64 v[4:5], v[6:7], v[4:5]
	v_fma_f64 v[32:33], v[6:7], v[2:3], -v[0:1]
	v_fma_f64 v[34:35], v[8:9], v[2:3], v[4:5]
	global_load_dwordx4 v[2:5], v[16:17], off offset:2816
	ds_read_b128 v[6:9], v110 offset:6912
	s_waitcnt vmcnt(0) lgkmcnt(0)
	v_mul_f64 v[0:1], v[8:9], v[4:5]
	v_mul_f64 v[4:5], v[6:7], v[4:5]
	v_fma_f64 v[28:29], v[6:7], v[2:3], -v[0:1]
	v_fma_f64 v[30:31], v[8:9], v[2:3], v[4:5]
	global_load_dwordx4 v[2:5], v[18:19], off offset:3840
	ds_read_b128 v[6:9], v110 offset:16128
	s_waitcnt vmcnt(0) lgkmcnt(0)
	v_mul_f64 v[0:1], v[8:9], v[4:5]
	v_mul_f64 v[4:5], v[6:7], v[4:5]
	v_fma_f64 v[24:25], v[6:7], v[2:3], -v[0:1]
	v_fma_f64 v[26:27], v[8:9], v[2:3], v[4:5]
	global_load_dwordx4 v[2:5], v[20:21], off offset:768
	ds_read_b128 v[6:9], v110 offset:25344
	s_waitcnt vmcnt(0) lgkmcnt(0)
	v_mul_f64 v[0:1], v[8:9], v[4:5]
	v_mul_f64 v[4:5], v[6:7], v[4:5]
	v_fma_f64 v[20:21], v[6:7], v[2:3], -v[0:1]
	v_add_co_u32_e32 v0, vcc, s25, v12
	v_addc_co_u32_e32 v1, vcc, 0, v13, vcc
	v_fma_f64 v[22:23], v[8:9], v[2:3], v[4:5]
	global_load_dwordx4 v[2:5], v[0:1], off offset:1792
	ds_read_b128 v[6:9], v110 offset:34560
	s_waitcnt vmcnt(0) lgkmcnt(0)
	v_mul_f64 v[0:1], v[8:9], v[4:5]
	v_mul_f64 v[4:5], v[6:7], v[4:5]
	v_fma_f64 v[16:17], v[6:7], v[2:3], -v[0:1]
	v_fma_f64 v[18:19], v[8:9], v[2:3], v[4:5]
	global_load_dwordx4 v[4:7], v[108:109], off offset:2816
	ds_read_b128 v[0:3], v110 offset:43776
	s_waitcnt vmcnt(0) lgkmcnt(0)
	v_mul_f64 v[8:9], v[2:3], v[6:7]
	v_mul_f64 v[6:7], v[0:1], v[6:7]
	v_fma_f64 v[12:13], v[0:1], v[4:5], -v[8:9]
	;; [unrolled: 7-line block ×3, first 2 shown]
	v_fma_f64 v[8:9], v[10:11], v[4:5], v[0:1]
	ds_write_b128 v110, v[100:103]
	ds_write_b128 v110, v[96:99] offset:9216
	ds_write_b128 v110, v[92:95] offset:18432
	ds_write_b128 v110, v[88:91] offset:27648
	ds_write_b128 v110, v[84:87] offset:36864
	ds_write_b128 v110, v[80:83] offset:46080
	ds_write_b128 v110, v[76:79] offset:2304
	ds_write_b128 v110, v[72:75] offset:11520
	ds_write_b128 v110, v[68:71] offset:20736
	ds_write_b128 v110, v[64:67] offset:29952
	ds_write_b128 v110, v[60:63] offset:39168
	ds_write_b128 v110, v[56:59] offset:48384
	ds_write_b128 v110, v[52:55] offset:4608
	ds_write_b128 v110, v[48:51] offset:13824
	ds_write_b128 v110, v[44:47] offset:23040
	ds_write_b128 v110, v[40:43] offset:32256
	ds_write_b128 v110, v[36:39] offset:41472
	ds_write_b128 v110, v[32:35] offset:50688
	ds_write_b128 v110, v[28:31] offset:6912
	ds_write_b128 v110, v[24:27] offset:16128
	ds_write_b128 v110, v[20:23] offset:25344
	ds_write_b128 v110, v[16:19] offset:34560
	ds_write_b128 v110, v[12:15] offset:43776
	ds_write_b128 v110, v[6:9] offset:52992
	s_waitcnt lgkmcnt(0)
	s_barrier
	ds_read_b128 v[0:3], v110
	ds_read_b128 v[4:7], v110 offset:18432
	ds_read_b128 v[8:11], v110 offset:36864
	s_waitcnt lgkmcnt(1)
	v_add_f64 v[12:13], v[0:1], v[4:5]
	v_add_f64 v[14:15], v[2:3], v[6:7]
	s_waitcnt lgkmcnt(0)
	v_add_f64 v[16:17], v[4:5], v[8:9]
	v_add_f64 v[18:19], v[6:7], -v[10:11]
	v_add_f64 v[20:21], v[6:7], v[10:11]
	v_add_f64 v[22:23], v[4:5], -v[8:9]
	v_add_f64 v[24:25], v[12:13], v[8:9]
	v_add_f64 v[26:27], v[14:15], v[10:11]
	ds_read_b128 v[4:7], v110 offset:9216
	ds_read_b128 v[8:11], v110 offset:27648
	;; [unrolled: 1-line block ×3, first 2 shown]
	v_fma_f64 v[0:1], v[16:17], -0.5, v[0:1]
	v_fma_f64 v[2:3], v[20:21], -0.5, v[2:3]
	s_waitcnt lgkmcnt(1)
	v_add_f64 v[28:29], v[4:5], v[8:9]
	s_waitcnt lgkmcnt(0)
	v_add_f64 v[32:33], v[10:11], v[14:15]
	v_add_f64 v[30:31], v[6:7], v[10:11]
	;; [unrolled: 1-line block ×3, first 2 shown]
	v_add_f64 v[8:9], v[8:9], -v[12:13]
	v_add_f64 v[10:11], v[10:11], -v[14:15]
	v_fma_f64 v[20:21], v[22:23], s[6:7], v[2:3]
	v_fma_f64 v[2:3], v[22:23], s[8:9], v[2:3]
	v_add_f64 v[12:13], v[28:29], v[12:13]
	v_fma_f64 v[6:7], v[32:33], -0.5, v[6:7]
	v_add_f64 v[14:15], v[30:31], v[14:15]
	v_fma_f64 v[4:5], v[34:35], -0.5, v[4:5]
	v_add_f64 v[48:49], v[24:25], v[12:13]
	v_add_f64 v[52:53], v[24:25], -v[12:13]
	v_fma_f64 v[12:13], v[8:9], s[6:7], v[6:7]
	v_fma_f64 v[6:7], v[8:9], s[8:9], v[6:7]
	v_add_f64 v[50:51], v[26:27], v[14:15]
	v_add_f64 v[54:55], v[26:27], -v[14:15]
	v_fma_f64 v[16:17], v[10:11], s[8:9], v[4:5]
	v_fma_f64 v[4:5], v[10:11], s[6:7], v[4:5]
	v_mul_f64 v[14:15], v[12:13], s[8:9]
	v_mul_f64 v[12:13], v[12:13], 0.5
	v_mul_f64 v[8:9], v[6:7], s[8:9]
	v_mul_f64 v[6:7], v[6:7], -0.5
	v_fma_f64 v[14:15], v[16:17], 0.5, v[14:15]
	v_fma_f64 v[12:13], v[16:17], s[6:7], v[12:13]
	v_fma_f64 v[16:17], v[18:19], s[8:9], v[0:1]
	;; [unrolled: 1-line block ×3, first 2 shown]
	v_fma_f64 v[8:9], v[4:5], -0.5, v[8:9]
	v_fma_f64 v[4:5], v[4:5], s[6:7], v[6:7]
	v_add_f64 v[58:59], v[20:21], v[12:13]
	v_add_f64 v[56:57], v[16:17], v[14:15]
	v_add_f64 v[60:61], v[16:17], -v[14:15]
	v_add_f64 v[62:63], v[20:21], -v[12:13]
	v_add_f64 v[64:65], v[0:1], v[8:9]
	v_add_f64 v[66:67], v[2:3], v[4:5]
	v_add_f64 v[68:69], v[0:1], -v[8:9]
	v_add_f64 v[70:71], v[2:3], -v[4:5]
	ds_read_b128 v[72:75], v110 offset:2304
	ds_read_b128 v[76:79], v110 offset:11520
	;; [unrolled: 1-line block ×18, first 2 shown]
	s_waitcnt lgkmcnt(0)
	s_barrier
	buffer_load_dword v96, off, s[36:39], 0 offset:416 ; 4-byte Folded Reload
	s_waitcnt vmcnt(0)
	ds_write_b128 v96, v[48:51]
	ds_write_b128 v96, v[56:59] offset:16
	ds_write_b128 v96, v[64:67] offset:32
	;; [unrolled: 1-line block ×5, first 2 shown]
	v_add_f64 v[48:49], v[72:73], v[80:81]
	v_add_f64 v[50:51], v[74:75], v[82:83]
	;; [unrolled: 1-line block ×4, first 2 shown]
	v_add_f64 v[66:67], v[80:81], -v[88:89]
	v_add_f64 v[62:63], v[84:85], v[92:93]
	v_add_f64 v[70:71], v[84:85], -v[92:93]
	v_add_f64 v[64:65], v[82:83], -v[90:91]
	v_add_f64 v[56:57], v[48:49], v[88:89]
	v_add_f64 v[48:49], v[76:77], v[84:85]
	;; [unrolled: 1-line block ×4, first 2 shown]
	v_fma_f64 v[78:79], v[60:61], -0.5, v[78:79]
	v_add_f64 v[54:55], v[82:83], v[90:91]
	v_add_f64 v[68:69], v[86:87], -v[94:95]
	v_fma_f64 v[72:73], v[52:53], -0.5, v[72:73]
	v_fma_f64 v[76:77], v[62:63], -0.5, v[76:77]
	v_add_f64 v[80:81], v[48:49], v[92:93]
	v_add_f64 v[82:83], v[50:51], v[94:95]
	v_fma_f64 v[74:75], v[54:55], -0.5, v[74:75]
	v_fma_f64 v[60:61], v[68:69], s[8:9], v[76:77]
	v_add_f64 v[48:49], v[56:57], v[80:81]
	v_add_f64 v[52:53], v[56:57], -v[80:81]
	v_fma_f64 v[56:57], v[70:71], s[6:7], v[78:79]
	v_add_f64 v[50:51], v[58:59], v[82:83]
	v_add_f64 v[54:55], v[58:59], -v[82:83]
	v_fma_f64 v[70:71], v[70:71], s[8:9], v[78:79]
	v_fma_f64 v[82:83], v[66:67], s[6:7], v[74:75]
	;; [unrolled: 1-line block ×3, first 2 shown]
	v_mul_f64 v[58:59], v[56:57], s[8:9]
	v_mul_f64 v[56:57], v[56:57], 0.5
	v_mul_f64 v[66:67], v[70:71], s[8:9]
	v_fma_f64 v[62:63], v[60:61], 0.5, v[58:59]
	v_fma_f64 v[80:81], v[60:61], s[6:7], v[56:57]
	v_fma_f64 v[60:61], v[64:65], s[8:9], v[72:73]
	;; [unrolled: 1-line block ×4, first 2 shown]
	v_mul_f64 v[68:69], v[70:71], -0.5
	v_add_f64 v[58:59], v[82:83], v[80:81]
	v_add_f64 v[56:57], v[60:61], v[62:63]
	v_add_f64 v[60:61], v[60:61], -v[62:63]
	v_fma_f64 v[70:71], v[64:65], -0.5, v[66:67]
	v_fma_f64 v[76:77], v[64:65], s[6:7], v[68:69]
	v_add_f64 v[62:63], v[82:83], -v[80:81]
	v_add_f64 v[64:65], v[72:73], v[70:71]
	v_add_f64 v[68:69], v[72:73], -v[70:71]
	buffer_load_dword v72, off, s[36:39], 0 offset:412 ; 4-byte Folded Reload
	v_add_f64 v[66:67], v[74:75], v[76:77]
	v_add_f64 v[70:71], v[74:75], -v[76:77]
	s_waitcnt vmcnt(0)
	ds_write_b128 v72, v[48:51]
	ds_write_b128 v72, v[56:59] offset:16
	ds_write_b128 v72, v[64:67] offset:32
	;; [unrolled: 1-line block ×5, first 2 shown]
	v_add_f64 v[48:49], v[28:29], v[40:41]
	v_add_f64 v[50:51], v[30:31], v[42:43]
	;; [unrolled: 1-line block ×3, first 2 shown]
	v_add_f64 v[54:55], v[42:43], -v[46:47]
	v_add_f64 v[42:43], v[42:43], v[46:47]
	v_add_f64 v[40:41], v[40:41], -v[44:45]
	v_add_f64 v[56:57], v[34:35], v[38:39]
	v_add_f64 v[58:59], v[32:33], v[36:37]
	;; [unrolled: 1-line block ×6, first 2 shown]
	v_add_f64 v[60:61], v[34:35], -v[38:39]
	v_add_f64 v[62:63], v[32:33], -v[36:37]
	v_fma_f64 v[42:43], v[42:43], -0.5, v[30:31]
	v_add_f64 v[32:33], v[48:49], v[36:37]
	v_add_f64 v[34:35], v[50:51], v[38:39]
	v_fma_f64 v[50:51], v[56:57], -0.5, v[26:27]
	v_fma_f64 v[48:49], v[52:53], -0.5, v[28:29]
	;; [unrolled: 1-line block ×3, first 2 shown]
	v_add_f64 v[24:25], v[44:45], v[32:33]
	v_add_f64 v[28:29], v[44:45], -v[32:33]
	v_fma_f64 v[32:33], v[62:63], s[6:7], v[50:51]
	v_add_f64 v[26:27], v[46:47], v[34:35]
	v_add_f64 v[30:31], v[46:47], -v[34:35]
	v_fma_f64 v[36:37], v[60:61], s[8:9], v[52:53]
	v_fma_f64 v[46:47], v[40:41], s[6:7], v[42:43]
	v_mul_f64 v[34:35], v[32:33], s[8:9]
	v_mul_f64 v[32:33], v[32:33], 0.5
	v_fma_f64 v[38:39], v[36:37], 0.5, v[34:35]
	v_fma_f64 v[44:45], v[36:37], s[6:7], v[32:33]
	v_fma_f64 v[36:37], v[54:55], s[8:9], v[48:49]
	v_add_f64 v[34:35], v[46:47], v[44:45]
	v_add_f64 v[32:33], v[36:37], v[38:39]
	v_add_f64 v[36:37], v[36:37], -v[38:39]
	v_add_f64 v[38:39], v[46:47], -v[44:45]
	v_fma_f64 v[44:45], v[62:63], s[8:9], v[50:51]
	v_fma_f64 v[46:47], v[54:55], s[6:7], v[48:49]
	;; [unrolled: 1-line block ×4, first 2 shown]
	v_mul_f64 v[42:43], v[44:45], s[8:9]
	v_mul_f64 v[44:45], v[44:45], -0.5
	v_fma_f64 v[50:51], v[40:41], -0.5, v[42:43]
	v_fma_f64 v[52:53], v[40:41], s[6:7], v[44:45]
	v_add_f64 v[40:41], v[46:47], v[50:51]
	v_add_f64 v[42:43], v[48:49], v[52:53]
	v_add_f64 v[44:45], v[46:47], -v[50:51]
	v_add_f64 v[46:47], v[48:49], -v[52:53]
	buffer_load_dword v48, off, s[36:39], 0 offset:404 ; 4-byte Folded Reload
	s_waitcnt vmcnt(0)
	ds_write_b128 v48, v[24:27]
	ds_write_b128 v48, v[32:35] offset:16
	ds_write_b128 v48, v[40:43] offset:32
	;; [unrolled: 1-line block ×5, first 2 shown]
	v_add_f64 v[24:25], v[4:5], v[16:17]
	v_add_f64 v[26:27], v[6:7], v[18:19]
	;; [unrolled: 1-line block ×3, first 2 shown]
	v_add_f64 v[30:31], v[18:19], -v[22:23]
	v_add_f64 v[18:19], v[18:19], v[22:23]
	v_add_f64 v[16:17], v[16:17], -v[20:21]
	v_add_f64 v[32:33], v[10:11], v[14:15]
	v_add_f64 v[34:35], v[8:9], v[12:13]
	;; [unrolled: 1-line block ×6, first 2 shown]
	v_add_f64 v[36:37], v[10:11], -v[14:15]
	v_add_f64 v[38:39], v[8:9], -v[12:13]
	v_fma_f64 v[18:19], v[18:19], -0.5, v[6:7]
	v_add_f64 v[8:9], v[24:25], v[12:13]
	v_add_f64 v[10:11], v[26:27], v[14:15]
	v_fma_f64 v[26:27], v[32:33], -0.5, v[2:3]
	v_fma_f64 v[24:25], v[28:29], -0.5, v[4:5]
	;; [unrolled: 1-line block ×3, first 2 shown]
	v_add_f64 v[0:1], v[20:21], v[8:9]
	v_add_f64 v[4:5], v[20:21], -v[8:9]
	v_fma_f64 v[8:9], v[38:39], s[6:7], v[26:27]
	v_add_f64 v[2:3], v[22:23], v[10:11]
	v_add_f64 v[6:7], v[22:23], -v[10:11]
	v_fma_f64 v[12:13], v[36:37], s[8:9], v[28:29]
	v_fma_f64 v[22:23], v[16:17], s[6:7], v[18:19]
	v_mul_f64 v[10:11], v[8:9], s[8:9]
	v_mul_f64 v[8:9], v[8:9], 0.5
	v_fma_f64 v[14:15], v[12:13], 0.5, v[10:11]
	v_fma_f64 v[20:21], v[12:13], s[6:7], v[8:9]
	v_fma_f64 v[12:13], v[30:31], s[8:9], v[24:25]
	v_add_f64 v[10:11], v[22:23], v[20:21]
	v_add_f64 v[8:9], v[12:13], v[14:15]
	v_add_f64 v[12:13], v[12:13], -v[14:15]
	v_add_f64 v[14:15], v[22:23], -v[20:21]
	v_fma_f64 v[20:21], v[38:39], s[8:9], v[26:27]
	v_fma_f64 v[22:23], v[30:31], s[6:7], v[24:25]
	;; [unrolled: 1-line block ×4, first 2 shown]
	v_mul_f64 v[18:19], v[20:21], s[8:9]
	v_mul_f64 v[20:21], v[20:21], -0.5
	v_fma_f64 v[26:27], v[16:17], -0.5, v[18:19]
	v_fma_f64 v[28:29], v[16:17], s[6:7], v[20:21]
	v_add_f64 v[16:17], v[22:23], v[26:27]
	v_add_f64 v[18:19], v[24:25], v[28:29]
	v_add_f64 v[20:21], v[22:23], -v[26:27]
	v_add_f64 v[22:23], v[24:25], -v[28:29]
	buffer_load_dword v24, off, s[36:39], 0 offset:400 ; 4-byte Folded Reload
	s_waitcnt vmcnt(0)
	ds_write_b128 v24, v[0:3]
	ds_write_b128 v24, v[8:11] offset:16
	ds_write_b128 v24, v[16:19] offset:32
	;; [unrolled: 1-line block ×5, first 2 shown]
	s_waitcnt lgkmcnt(0)
	s_barrier
	ds_read_b128 v[0:3], v110 offset:9216
	buffer_load_dword v6, off, s[36:39], 0 offset:648 ; 4-byte Folded Reload
	buffer_load_dword v7, off, s[36:39], 0 offset:652 ; 4-byte Folded Reload
	buffer_load_dword v8, off, s[36:39], 0 offset:656 ; 4-byte Folded Reload
	buffer_load_dword v9, off, s[36:39], 0 offset:660 ; 4-byte Folded Reload
	s_waitcnt vmcnt(0) lgkmcnt(0)
	v_mul_f64 v[4:5], v[8:9], v[2:3]
	v_fma_f64 v[4:5], v[6:7], v[0:1], v[4:5]
	v_mul_f64 v[0:1], v[8:9], v[0:1]
	v_fma_f64 v[6:7], v[6:7], v[2:3], -v[0:1]
	ds_read_b128 v[0:3], v110 offset:18432
	buffer_load_dword v10, off, s[36:39], 0 offset:632 ; 4-byte Folded Reload
	buffer_load_dword v11, off, s[36:39], 0 offset:636 ; 4-byte Folded Reload
	buffer_load_dword v12, off, s[36:39], 0 offset:640 ; 4-byte Folded Reload
	buffer_load_dword v13, off, s[36:39], 0 offset:644 ; 4-byte Folded Reload
	s_waitcnt vmcnt(0) lgkmcnt(0)
	v_mul_f64 v[8:9], v[12:13], v[2:3]
	v_fma_f64 v[76:77], v[10:11], v[0:1], v[8:9]
	v_mul_f64 v[0:1], v[12:13], v[0:1]
	v_fma_f64 v[78:79], v[10:11], v[2:3], -v[0:1]
	;; [unrolled: 10-line block ×20, first 2 shown]
	v_add_f64 v[68:69], v[76:77], v[84:85]
	ds_read_b128 v[0:3], v110
	s_waitcnt lgkmcnt(0)
	v_fma_f64 v[92:93], v[68:69], -0.5, v[0:1]
	v_add_f64 v[68:69], v[78:79], v[86:87]
	v_add_f64 v[0:1], v[0:1], v[76:77]
	v_fma_f64 v[94:95], v[68:69], -0.5, v[2:3]
	v_add_f64 v[68:69], v[4:5], v[80:81]
	v_add_f64 v[2:3], v[2:3], v[78:79]
	;; [unrolled: 1-line block ×3, first 2 shown]
	v_add_f64 v[84:85], v[76:77], -v[84:85]
	v_add_f64 v[72:73], v[68:69], v[88:89]
	v_add_f64 v[68:69], v[6:7], v[82:83]
	;; [unrolled: 1-line block ×3, first 2 shown]
	v_add_f64 v[86:87], v[78:79], -v[86:87]
	v_add_f64 v[74:75], v[68:69], v[90:91]
	v_add_f64 v[68:69], v[0:1], v[72:73]
	v_add_f64 v[72:73], v[0:1], -v[72:73]
	v_add_f64 v[0:1], v[82:83], v[90:91]
	v_add_f64 v[70:71], v[2:3], v[74:75]
	v_add_f64 v[74:75], v[2:3], -v[74:75]
	v_add_f64 v[2:3], v[80:81], v[88:89]
	v_fma_f64 v[0:1], v[0:1], -0.5, v[6:7]
	v_add_f64 v[6:7], v[80:81], -v[88:89]
	v_fma_f64 v[2:3], v[2:3], -0.5, v[4:5]
	v_add_f64 v[4:5], v[82:83], -v[90:91]
	v_fma_f64 v[76:77], v[6:7], s[6:7], v[0:1]
	v_fma_f64 v[0:1], v[6:7], s[8:9], v[0:1]
	;; [unrolled: 1-line block ×5, first 2 shown]
	v_mul_f64 v[78:79], v[76:77], s[8:9]
	v_mul_f64 v[76:77], v[76:77], 0.5
	v_fma_f64 v[2:3], v[4:5], s[6:7], v[2:3]
	v_mul_f64 v[4:5], v[0:1], s[8:9]
	v_mul_f64 v[0:1], v[0:1], -0.5
	v_fma_f64 v[82:83], v[80:81], 0.5, v[78:79]
	v_fma_f64 v[88:89], v[80:81], s[6:7], v[76:77]
	v_fma_f64 v[80:81], v[86:87], s[8:9], v[92:93]
	v_fma_f64 v[4:5], v[2:3], -0.5, v[4:5]
	v_fma_f64 v[0:1], v[2:3], s[6:7], v[0:1]
	v_add_f64 v[78:79], v[90:91], v[88:89]
	v_add_f64 v[76:77], v[80:81], v[82:83]
	v_add_f64 v[80:81], v[80:81], -v[82:83]
	v_add_f64 v[82:83], v[90:91], -v[88:89]
	v_fma_f64 v[90:91], v[84:85], s[8:9], v[94:95]
	v_add_f64 v[84:85], v[6:7], v[4:5]
	v_add_f64 v[88:89], v[6:7], -v[4:5]
	v_add_f64 v[86:87], v[90:91], v[0:1]
	v_add_f64 v[90:91], v[90:91], -v[0:1]
	ds_read_b128 v[92:95], v110 offset:2304
	ds_read_b128 v[4:7], v110 offset:4608
	;; [unrolled: 1-line block ×3, first 2 shown]
	s_waitcnt lgkmcnt(0)
	s_barrier
	buffer_load_dword v96, off, s[36:39], 0 offset:1044 ; 4-byte Folded Reload
	s_waitcnt vmcnt(0)
	ds_write_b128 v96, v[68:71]
	ds_write_b128 v96, v[76:79] offset:96
	ds_write_b128 v96, v[84:87] offset:192
	;; [unrolled: 1-line block ×5, first 2 shown]
	v_add_f64 v[68:69], v[52:53], v[60:61]
	v_add_f64 v[70:71], v[94:95], v[54:55]
	v_fma_f64 v[76:77], v[68:69], -0.5, v[92:93]
	v_add_f64 v[68:69], v[54:55], v[62:63]
	v_add_f64 v[74:75], v[70:71], v[62:63]
	v_add_f64 v[62:63], v[54:55], -v[62:63]
	v_fma_f64 v[78:79], v[68:69], -0.5, v[94:95]
	v_add_f64 v[68:69], v[92:93], v[52:53]
	v_add_f64 v[72:73], v[68:69], v[60:61]
	v_add_f64 v[68:69], v[48:49], v[58:59]
	v_add_f64 v[60:61], v[52:53], -v[60:61]
	v_add_f64 v[80:81], v[68:69], v[66:67]
	v_add_f64 v[68:69], v[50:51], v[56:57]
	;; [unrolled: 1-line block ×4, first 2 shown]
	v_add_f64 v[72:73], v[72:73], -v[80:81]
	v_add_f64 v[80:81], v[56:57], v[64:65]
	v_add_f64 v[56:57], v[56:57], -v[64:65]
	v_add_f64 v[70:71], v[74:75], v[82:83]
	v_add_f64 v[74:75], v[74:75], -v[82:83]
	v_fma_f64 v[82:83], v[60:61], s[6:7], v[78:79]
	v_fma_f64 v[80:81], v[80:81], -0.5, v[50:51]
	v_add_f64 v[50:51], v[58:59], v[66:67]
	v_add_f64 v[58:59], v[58:59], -v[66:67]
	v_fma_f64 v[66:67], v[50:51], -0.5, v[48:49]
	v_fma_f64 v[48:49], v[58:59], s[6:7], v[80:81]
	v_fma_f64 v[58:59], v[58:59], s[8:9], v[80:81]
	;; [unrolled: 1-line block ×3, first 2 shown]
	v_mul_f64 v[50:51], v[48:49], s[8:9]
	v_mul_f64 v[48:49], v[48:49], 0.5
	v_fma_f64 v[56:57], v[56:57], s[6:7], v[66:67]
	v_fma_f64 v[54:55], v[52:53], 0.5, v[50:51]
	v_fma_f64 v[64:65], v[52:53], s[6:7], v[48:49]
	v_fma_f64 v[52:53], v[62:63], s[8:9], v[76:77]
	;; [unrolled: 1-line block ×3, first 2 shown]
	v_add_f64 v[50:51], v[82:83], v[64:65]
	v_add_f64 v[48:49], v[52:53], v[54:55]
	v_add_f64 v[52:53], v[52:53], -v[54:55]
	v_add_f64 v[54:55], v[82:83], -v[64:65]
	v_fma_f64 v[64:65], v[60:61], s[8:9], v[78:79]
	v_mul_f64 v[60:61], v[58:59], s[8:9]
	v_mul_f64 v[58:59], v[58:59], -0.5
	v_fma_f64 v[60:61], v[56:57], -0.5, v[60:61]
	v_fma_f64 v[66:67], v[56:57], s[6:7], v[58:59]
	v_add_f64 v[56:57], v[62:63], v[60:61]
	v_add_f64 v[58:59], v[64:65], v[66:67]
	v_add_f64 v[60:61], v[62:63], -v[60:61]
	v_add_f64 v[62:63], v[64:65], -v[66:67]
	buffer_load_dword v64, off, s[36:39], 0 offset:908 ; 4-byte Folded Reload
	s_waitcnt vmcnt(0)
	ds_write_b128 v64, v[68:71]
	ds_write_b128 v64, v[48:51] offset:96
	ds_write_b128 v64, v[56:59] offset:192
	;; [unrolled: 1-line block ×5, first 2 shown]
	v_add_f64 v[48:49], v[30:31], v[40:41]
	v_fma_f64 v[52:53], v[48:49], -0.5, v[4:5]
	v_add_f64 v[48:49], v[34:35], v[42:43]
	v_add_f64 v[4:5], v[4:5], v[30:31]
	v_fma_f64 v[54:55], v[48:49], -0.5, v[6:7]
	v_add_f64 v[48:49], v[4:5], v[40:41]
	v_add_f64 v[4:5], v[28:29], v[38:39]
	;; [unrolled: 1-line block ×3, first 2 shown]
	v_add_f64 v[40:41], v[30:31], -v[40:41]
	v_add_f64 v[56:57], v[4:5], v[46:47]
	v_add_f64 v[4:5], v[32:33], v[36:37]
	;; [unrolled: 1-line block ×3, first 2 shown]
	v_add_f64 v[42:43], v[34:35], -v[42:43]
	v_add_f64 v[58:59], v[4:5], v[44:45]
	v_add_f64 v[4:5], v[48:49], v[56:57]
	v_add_f64 v[48:49], v[48:49], -v[56:57]
	v_add_f64 v[56:57], v[36:37], v[44:45]
	v_add_f64 v[36:37], v[36:37], -v[44:45]
	;; [unrolled: 2-line block ×3, first 2 shown]
	v_fma_f64 v[58:59], v[40:41], s[6:7], v[54:55]
	v_fma_f64 v[56:57], v[56:57], -0.5, v[32:33]
	v_add_f64 v[32:33], v[38:39], v[46:47]
	v_add_f64 v[38:39], v[38:39], -v[46:47]
	v_fma_f64 v[46:47], v[32:33], -0.5, v[28:29]
	v_fma_f64 v[28:29], v[38:39], s[6:7], v[56:57]
	v_fma_f64 v[38:39], v[38:39], s[8:9], v[56:57]
	;; [unrolled: 1-line block ×3, first 2 shown]
	v_mul_f64 v[30:31], v[28:29], s[8:9]
	v_mul_f64 v[28:29], v[28:29], 0.5
	v_fma_f64 v[36:37], v[36:37], s[6:7], v[46:47]
	v_fma_f64 v[34:35], v[32:33], 0.5, v[30:31]
	v_fma_f64 v[44:45], v[32:33], s[6:7], v[28:29]
	v_fma_f64 v[32:33], v[42:43], s[8:9], v[52:53]
	;; [unrolled: 1-line block ×3, first 2 shown]
	v_add_f64 v[30:31], v[58:59], v[44:45]
	v_add_f64 v[28:29], v[32:33], v[34:35]
	v_add_f64 v[32:33], v[32:33], -v[34:35]
	v_add_f64 v[34:35], v[58:59], -v[44:45]
	v_fma_f64 v[44:45], v[40:41], s[8:9], v[54:55]
	v_mul_f64 v[40:41], v[38:39], s[8:9]
	v_mul_f64 v[38:39], v[38:39], -0.5
	v_fma_f64 v[40:41], v[36:37], -0.5, v[40:41]
	v_fma_f64 v[46:47], v[36:37], s[6:7], v[38:39]
	v_add_f64 v[36:37], v[42:43], v[40:41]
	v_add_f64 v[38:39], v[44:45], v[46:47]
	v_add_f64 v[40:41], v[42:43], -v[40:41]
	v_add_f64 v[42:43], v[44:45], -v[46:47]
	buffer_load_dword v44, off, s[36:39], 0 offset:824 ; 4-byte Folded Reload
	s_waitcnt vmcnt(0)
	ds_write_b128 v44, v[4:7]
	ds_write_b128 v44, v[28:31] offset:96
	ds_write_b128 v44, v[36:39] offset:192
	;; [unrolled: 1-line block ×5, first 2 shown]
	v_add_f64 v[4:5], v[10:11], v[20:21]
	v_fma_f64 v[28:29], v[4:5], -0.5, v[0:1]
	v_add_f64 v[4:5], v[14:15], v[22:23]
	v_add_f64 v[0:1], v[0:1], v[10:11]
	v_fma_f64 v[30:31], v[4:5], -0.5, v[2:3]
	v_add_f64 v[4:5], v[0:1], v[20:21]
	v_add_f64 v[0:1], v[8:9], v[18:19]
	;; [unrolled: 1-line block ×3, first 2 shown]
	v_add_f64 v[20:21], v[10:11], -v[20:21]
	v_add_f64 v[32:33], v[0:1], v[26:27]
	v_add_f64 v[0:1], v[12:13], v[16:17]
	;; [unrolled: 1-line block ×3, first 2 shown]
	v_add_f64 v[22:23], v[14:15], -v[22:23]
	v_add_f64 v[34:35], v[0:1], v[24:25]
	v_add_f64 v[0:1], v[4:5], v[32:33]
	v_add_f64 v[4:5], v[4:5], -v[32:33]
	v_add_f64 v[32:33], v[16:17], v[24:25]
	v_add_f64 v[16:17], v[16:17], -v[24:25]
	;; [unrolled: 2-line block ×3, first 2 shown]
	v_fma_f64 v[34:35], v[20:21], s[6:7], v[30:31]
	v_fma_f64 v[32:33], v[32:33], -0.5, v[12:13]
	v_add_f64 v[12:13], v[18:19], v[26:27]
	v_add_f64 v[18:19], v[18:19], -v[26:27]
	v_fma_f64 v[26:27], v[12:13], -0.5, v[8:9]
	v_fma_f64 v[8:9], v[18:19], s[6:7], v[32:33]
	v_fma_f64 v[18:19], v[18:19], s[8:9], v[32:33]
	;; [unrolled: 1-line block ×3, first 2 shown]
	v_mul_f64 v[10:11], v[8:9], s[8:9]
	v_mul_f64 v[8:9], v[8:9], 0.5
	v_fma_f64 v[16:17], v[16:17], s[6:7], v[26:27]
	v_fma_f64 v[14:15], v[12:13], 0.5, v[10:11]
	v_fma_f64 v[24:25], v[12:13], s[6:7], v[8:9]
	v_fma_f64 v[12:13], v[22:23], s[8:9], v[28:29]
	;; [unrolled: 1-line block ×3, first 2 shown]
	v_add_f64 v[10:11], v[34:35], v[24:25]
	v_add_f64 v[8:9], v[12:13], v[14:15]
	v_add_f64 v[12:13], v[12:13], -v[14:15]
	v_add_f64 v[14:15], v[34:35], -v[24:25]
	v_fma_f64 v[24:25], v[20:21], s[8:9], v[30:31]
	v_mul_f64 v[20:21], v[18:19], s[8:9]
	v_mul_f64 v[18:19], v[18:19], -0.5
	v_fma_f64 v[20:21], v[16:17], -0.5, v[20:21]
	v_fma_f64 v[26:27], v[16:17], s[6:7], v[18:19]
	v_add_f64 v[16:17], v[22:23], v[20:21]
	v_add_f64 v[18:19], v[24:25], v[26:27]
	v_add_f64 v[20:21], v[22:23], -v[20:21]
	v_add_f64 v[22:23], v[24:25], -v[26:27]
	buffer_load_dword v24, off, s[36:39], 0 offset:468 ; 4-byte Folded Reload
	s_waitcnt vmcnt(0)
	ds_write_b128 v24, v[0:3]
	ds_write_b128 v24, v[8:11] offset:96
	ds_write_b128 v24, v[16:19] offset:192
	;; [unrolled: 1-line block ×5, first 2 shown]
	s_waitcnt lgkmcnt(0)
	s_barrier
	ds_read_b128 v[0:3], v110 offset:9216
	buffer_load_dword v6, off, s[36:39], 0 offset:792 ; 4-byte Folded Reload
	buffer_load_dword v7, off, s[36:39], 0 offset:796 ; 4-byte Folded Reload
	buffer_load_dword v8, off, s[36:39], 0 offset:800 ; 4-byte Folded Reload
	buffer_load_dword v9, off, s[36:39], 0 offset:804 ; 4-byte Folded Reload
	s_waitcnt vmcnt(0) lgkmcnt(0)
	v_mul_f64 v[4:5], v[8:9], v[2:3]
	v_fma_f64 v[4:5], v[6:7], v[0:1], v[4:5]
	v_mul_f64 v[0:1], v[8:9], v[0:1]
	v_fma_f64 v[6:7], v[6:7], v[2:3], -v[0:1]
	ds_read_b128 v[0:3], v110 offset:18432
	buffer_load_dword v10, off, s[36:39], 0 offset:776 ; 4-byte Folded Reload
	buffer_load_dword v11, off, s[36:39], 0 offset:780 ; 4-byte Folded Reload
	buffer_load_dword v12, off, s[36:39], 0 offset:784 ; 4-byte Folded Reload
	buffer_load_dword v13, off, s[36:39], 0 offset:788 ; 4-byte Folded Reload
	s_waitcnt vmcnt(0) lgkmcnt(0)
	v_mul_f64 v[8:9], v[12:13], v[2:3]
	v_fma_f64 v[76:77], v[10:11], v[0:1], v[8:9]
	v_mul_f64 v[0:1], v[12:13], v[0:1]
	v_fma_f64 v[78:79], v[10:11], v[2:3], -v[0:1]
	;; [unrolled: 10-line block ×3, first 2 shown]
	ds_read_b128 v[0:3], v110 offset:36864
	buffer_load_dword v10, off, s[36:39], 0 offset:760 ; 4-byte Folded Reload
	buffer_load_dword v11, off, s[36:39], 0 offset:764 ; 4-byte Folded Reload
	;; [unrolled: 1-line block ×4, first 2 shown]
	s_waitcnt vmcnt(0) lgkmcnt(0)
	v_mul_f64 v[8:9], v[12:13], v[2:3]
	v_fma_f64 v[84:85], v[10:11], v[0:1], v[8:9]
	v_mul_f64 v[0:1], v[12:13], v[0:1]
	v_add_f64 v[68:69], v[76:77], v[84:85]
	v_fma_f64 v[86:87], v[10:11], v[2:3], -v[0:1]
	ds_read_b128 v[0:3], v110 offset:46080
	buffer_load_dword v10, off, s[36:39], 0 offset:728 ; 4-byte Folded Reload
	buffer_load_dword v11, off, s[36:39], 0 offset:732 ; 4-byte Folded Reload
	buffer_load_dword v12, off, s[36:39], 0 offset:736 ; 4-byte Folded Reload
	buffer_load_dword v13, off, s[36:39], 0 offset:740 ; 4-byte Folded Reload
	s_waitcnt vmcnt(0) lgkmcnt(0)
	v_mul_f64 v[8:9], v[12:13], v[2:3]
	v_fma_f64 v[88:89], v[10:11], v[0:1], v[8:9]
	v_mul_f64 v[0:1], v[12:13], v[0:1]
	v_fma_f64 v[90:91], v[10:11], v[2:3], -v[0:1]
	ds_read_b128 v[0:3], v110 offset:11520
	buffer_load_dword v10, off, s[36:39], 0 offset:828 ; 4-byte Folded Reload
	buffer_load_dword v11, off, s[36:39], 0 offset:832 ; 4-byte Folded Reload
	buffer_load_dword v12, off, s[36:39], 0 offset:836 ; 4-byte Folded Reload
	buffer_load_dword v13, off, s[36:39], 0 offset:840 ; 4-byte Folded Reload
	s_waitcnt vmcnt(0) lgkmcnt(0)
	v_mul_f64 v[8:9], v[12:13], v[2:3]
	v_fma_f64 v[48:49], v[10:11], v[0:1], v[8:9]
	v_mul_f64 v[0:1], v[12:13], v[0:1]
	;; [unrolled: 10-line block ×12, first 2 shown]
	v_fma_f64 v[12:13], v[10:11], v[2:3], -v[0:1]
	ds_read_b128 v[0:3], v110 offset:25344
	s_waitcnt lgkmcnt(0)
	v_mul_f64 v[10:11], v[250:251], v[2:3]
	v_fma_f64 v[10:11], v[248:249], v[0:1], v[10:11]
	v_mul_f64 v[0:1], v[250:251], v[0:1]
	v_fma_f64 v[14:15], v[248:249], v[2:3], -v[0:1]
	ds_read_b128 v[0:3], v110 offset:34560
	s_waitcnt lgkmcnt(0)
	v_mul_f64 v[16:17], v[246:247], v[2:3]
	v_fma_f64 v[18:19], v[244:245], v[0:1], v[16:17]
	v_mul_f64 v[0:1], v[246:247], v[0:1]
	;; [unrolled: 6-line block ×4, first 2 shown]
	v_fma_f64 v[24:25], v[228:229], v[2:3], -v[0:1]
	ds_read_b128 v[0:3], v110
	s_waitcnt lgkmcnt(0)
	v_fma_f64 v[92:93], v[68:69], -0.5, v[0:1]
	v_add_f64 v[68:69], v[78:79], v[86:87]
	v_add_f64 v[0:1], v[0:1], v[76:77]
	v_fma_f64 v[94:95], v[68:69], -0.5, v[2:3]
	v_add_f64 v[68:69], v[4:5], v[80:81]
	v_add_f64 v[2:3], v[2:3], v[78:79]
	;; [unrolled: 1-line block ×3, first 2 shown]
	v_add_f64 v[84:85], v[76:77], -v[84:85]
	v_add_f64 v[72:73], v[68:69], v[88:89]
	v_add_f64 v[68:69], v[6:7], v[82:83]
	;; [unrolled: 1-line block ×3, first 2 shown]
	v_add_f64 v[86:87], v[78:79], -v[86:87]
	v_add_f64 v[74:75], v[68:69], v[90:91]
	v_add_f64 v[68:69], v[0:1], v[72:73]
	v_add_f64 v[72:73], v[0:1], -v[72:73]
	v_add_f64 v[0:1], v[82:83], v[90:91]
	v_add_f64 v[70:71], v[2:3], v[74:75]
	v_add_f64 v[74:75], v[2:3], -v[74:75]
	v_add_f64 v[2:3], v[80:81], v[88:89]
	v_fma_f64 v[0:1], v[0:1], -0.5, v[6:7]
	v_add_f64 v[6:7], v[80:81], -v[88:89]
	v_fma_f64 v[2:3], v[2:3], -0.5, v[4:5]
	v_add_f64 v[4:5], v[82:83], -v[90:91]
	v_fma_f64 v[76:77], v[6:7], s[6:7], v[0:1]
	v_fma_f64 v[0:1], v[6:7], s[8:9], v[0:1]
	;; [unrolled: 1-line block ×5, first 2 shown]
	v_mul_f64 v[78:79], v[76:77], s[8:9]
	v_mul_f64 v[76:77], v[76:77], 0.5
	v_fma_f64 v[2:3], v[4:5], s[6:7], v[2:3]
	v_mul_f64 v[4:5], v[0:1], s[8:9]
	v_mul_f64 v[0:1], v[0:1], -0.5
	v_fma_f64 v[82:83], v[80:81], 0.5, v[78:79]
	v_fma_f64 v[88:89], v[80:81], s[6:7], v[76:77]
	v_fma_f64 v[80:81], v[86:87], s[8:9], v[92:93]
	v_fma_f64 v[4:5], v[2:3], -0.5, v[4:5]
	v_fma_f64 v[0:1], v[2:3], s[6:7], v[0:1]
	v_add_f64 v[78:79], v[90:91], v[88:89]
	v_add_f64 v[76:77], v[80:81], v[82:83]
	v_add_f64 v[80:81], v[80:81], -v[82:83]
	v_add_f64 v[82:83], v[90:91], -v[88:89]
	v_fma_f64 v[90:91], v[84:85], s[8:9], v[94:95]
	v_add_f64 v[84:85], v[6:7], v[4:5]
	v_add_f64 v[88:89], v[6:7], -v[4:5]
	v_add_f64 v[86:87], v[90:91], v[0:1]
	v_add_f64 v[90:91], v[90:91], -v[0:1]
	ds_read_b128 v[92:95], v110 offset:2304
	ds_read_b128 v[4:7], v110 offset:4608
	;; [unrolled: 1-line block ×3, first 2 shown]
	s_waitcnt lgkmcnt(0)
	s_barrier
	ds_write_b128 v123, v[68:71]
	ds_write_b128 v123, v[76:79] offset:576
	ds_write_b128 v123, v[84:87] offset:1152
	;; [unrolled: 1-line block ×5, first 2 shown]
	v_add_f64 v[68:69], v[52:53], v[60:61]
	v_add_f64 v[70:71], v[94:95], v[54:55]
	v_fma_f64 v[76:77], v[68:69], -0.5, v[92:93]
	v_add_f64 v[68:69], v[54:55], v[62:63]
	v_add_f64 v[74:75], v[70:71], v[62:63]
	v_add_f64 v[62:63], v[54:55], -v[62:63]
	v_fma_f64 v[78:79], v[68:69], -0.5, v[94:95]
	v_add_f64 v[68:69], v[92:93], v[52:53]
	v_add_f64 v[72:73], v[68:69], v[60:61]
	;; [unrolled: 1-line block ×3, first 2 shown]
	v_add_f64 v[60:61], v[52:53], -v[60:61]
	v_add_f64 v[80:81], v[68:69], v[66:67]
	v_add_f64 v[68:69], v[50:51], v[56:57]
	;; [unrolled: 1-line block ×4, first 2 shown]
	v_add_f64 v[72:73], v[72:73], -v[80:81]
	v_add_f64 v[80:81], v[56:57], v[64:65]
	v_add_f64 v[56:57], v[56:57], -v[64:65]
	v_add_f64 v[70:71], v[74:75], v[82:83]
	v_add_f64 v[74:75], v[74:75], -v[82:83]
	v_fma_f64 v[82:83], v[60:61], s[6:7], v[78:79]
	v_fma_f64 v[80:81], v[80:81], -0.5, v[50:51]
	v_add_f64 v[50:51], v[58:59], v[66:67]
	v_add_f64 v[58:59], v[58:59], -v[66:67]
	v_fma_f64 v[66:67], v[50:51], -0.5, v[48:49]
	v_fma_f64 v[48:49], v[58:59], s[6:7], v[80:81]
	v_fma_f64 v[58:59], v[58:59], s[8:9], v[80:81]
	;; [unrolled: 1-line block ×3, first 2 shown]
	v_mul_f64 v[50:51], v[48:49], s[8:9]
	v_mul_f64 v[48:49], v[48:49], 0.5
	v_fma_f64 v[56:57], v[56:57], s[6:7], v[66:67]
	v_fma_f64 v[54:55], v[52:53], 0.5, v[50:51]
	v_fma_f64 v[64:65], v[52:53], s[6:7], v[48:49]
	v_fma_f64 v[52:53], v[62:63], s[8:9], v[76:77]
	;; [unrolled: 1-line block ×3, first 2 shown]
	v_add_f64 v[50:51], v[82:83], v[64:65]
	v_add_f64 v[48:49], v[52:53], v[54:55]
	v_add_f64 v[52:53], v[52:53], -v[54:55]
	v_add_f64 v[54:55], v[82:83], -v[64:65]
	v_fma_f64 v[64:65], v[60:61], s[8:9], v[78:79]
	v_mul_f64 v[60:61], v[58:59], s[8:9]
	v_mul_f64 v[58:59], v[58:59], -0.5
	v_fma_f64 v[60:61], v[56:57], -0.5, v[60:61]
	v_fma_f64 v[66:67], v[56:57], s[6:7], v[58:59]
	v_add_f64 v[56:57], v[62:63], v[60:61]
	v_add_f64 v[58:59], v[64:65], v[66:67]
	v_add_f64 v[60:61], v[62:63], -v[60:61]
	v_add_f64 v[62:63], v[64:65], -v[66:67]
	buffer_load_dword v64, off, s[36:39], 0 offset:1068 ; 4-byte Folded Reload
	s_waitcnt vmcnt(0)
	ds_write_b128 v64, v[68:71]
	ds_write_b128 v64, v[48:51] offset:576
	ds_write_b128 v64, v[56:59] offset:1152
	;; [unrolled: 1-line block ×5, first 2 shown]
	v_add_f64 v[48:49], v[30:31], v[40:41]
	v_fma_f64 v[52:53], v[48:49], -0.5, v[4:5]
	v_add_f64 v[48:49], v[34:35], v[42:43]
	v_add_f64 v[4:5], v[4:5], v[30:31]
	v_fma_f64 v[54:55], v[48:49], -0.5, v[6:7]
	v_add_f64 v[48:49], v[4:5], v[40:41]
	v_add_f64 v[4:5], v[28:29], v[38:39]
	;; [unrolled: 1-line block ×3, first 2 shown]
	v_add_f64 v[40:41], v[30:31], -v[40:41]
	v_add_f64 v[56:57], v[4:5], v[46:47]
	v_add_f64 v[4:5], v[32:33], v[36:37]
	v_add_f64 v[50:51], v[6:7], v[42:43]
	v_add_f64 v[42:43], v[34:35], -v[42:43]
	v_add_f64 v[58:59], v[4:5], v[44:45]
	v_add_f64 v[4:5], v[48:49], v[56:57]
	v_add_f64 v[48:49], v[48:49], -v[56:57]
	v_add_f64 v[56:57], v[36:37], v[44:45]
	v_add_f64 v[36:37], v[36:37], -v[44:45]
	;; [unrolled: 2-line block ×3, first 2 shown]
	v_fma_f64 v[58:59], v[40:41], s[6:7], v[54:55]
	v_fma_f64 v[56:57], v[56:57], -0.5, v[32:33]
	v_add_f64 v[32:33], v[38:39], v[46:47]
	v_add_f64 v[38:39], v[38:39], -v[46:47]
	v_fma_f64 v[46:47], v[32:33], -0.5, v[28:29]
	v_fma_f64 v[28:29], v[38:39], s[6:7], v[56:57]
	v_fma_f64 v[38:39], v[38:39], s[8:9], v[56:57]
	;; [unrolled: 1-line block ×3, first 2 shown]
	v_mul_f64 v[30:31], v[28:29], s[8:9]
	v_mul_f64 v[28:29], v[28:29], 0.5
	v_fma_f64 v[36:37], v[36:37], s[6:7], v[46:47]
	v_fma_f64 v[34:35], v[32:33], 0.5, v[30:31]
	v_fma_f64 v[44:45], v[32:33], s[6:7], v[28:29]
	v_fma_f64 v[32:33], v[42:43], s[8:9], v[52:53]
	;; [unrolled: 1-line block ×3, first 2 shown]
	v_add_f64 v[30:31], v[58:59], v[44:45]
	v_add_f64 v[28:29], v[32:33], v[34:35]
	v_add_f64 v[32:33], v[32:33], -v[34:35]
	v_add_f64 v[34:35], v[58:59], -v[44:45]
	v_fma_f64 v[44:45], v[40:41], s[8:9], v[54:55]
	v_mul_f64 v[40:41], v[38:39], s[8:9]
	v_mul_f64 v[38:39], v[38:39], -0.5
	v_fma_f64 v[40:41], v[36:37], -0.5, v[40:41]
	v_fma_f64 v[46:47], v[36:37], s[6:7], v[38:39]
	v_add_f64 v[36:37], v[42:43], v[40:41]
	v_add_f64 v[38:39], v[44:45], v[46:47]
	v_add_f64 v[40:41], v[42:43], -v[40:41]
	v_add_f64 v[42:43], v[44:45], -v[46:47]
	buffer_load_dword v44, off, s[36:39], 0 offset:1064 ; 4-byte Folded Reload
	s_waitcnt vmcnt(0)
	ds_write_b128 v44, v[4:7]
	ds_write_b128 v44, v[28:31] offset:576
	ds_write_b128 v44, v[36:39] offset:1152
	;; [unrolled: 1-line block ×5, first 2 shown]
	v_add_f64 v[4:5], v[10:11], v[20:21]
	v_fma_f64 v[28:29], v[4:5], -0.5, v[0:1]
	v_add_f64 v[4:5], v[14:15], v[22:23]
	v_add_f64 v[0:1], v[0:1], v[10:11]
	v_fma_f64 v[30:31], v[4:5], -0.5, v[2:3]
	v_add_f64 v[4:5], v[0:1], v[20:21]
	v_add_f64 v[0:1], v[8:9], v[18:19]
	;; [unrolled: 1-line block ×3, first 2 shown]
	v_add_f64 v[20:21], v[10:11], -v[20:21]
	v_add_f64 v[32:33], v[0:1], v[26:27]
	v_add_f64 v[0:1], v[12:13], v[16:17]
	;; [unrolled: 1-line block ×3, first 2 shown]
	v_add_f64 v[22:23], v[14:15], -v[22:23]
	v_add_f64 v[34:35], v[0:1], v[24:25]
	v_add_f64 v[0:1], v[4:5], v[32:33]
	v_add_f64 v[4:5], v[4:5], -v[32:33]
	v_add_f64 v[32:33], v[16:17], v[24:25]
	v_add_f64 v[16:17], v[16:17], -v[24:25]
	;; [unrolled: 2-line block ×3, first 2 shown]
	v_fma_f64 v[34:35], v[20:21], s[6:7], v[30:31]
	v_fma_f64 v[32:33], v[32:33], -0.5, v[12:13]
	v_add_f64 v[12:13], v[18:19], v[26:27]
	v_add_f64 v[18:19], v[18:19], -v[26:27]
	v_fma_f64 v[26:27], v[12:13], -0.5, v[8:9]
	v_fma_f64 v[8:9], v[18:19], s[6:7], v[32:33]
	v_fma_f64 v[18:19], v[18:19], s[8:9], v[32:33]
	;; [unrolled: 1-line block ×3, first 2 shown]
	v_mul_f64 v[10:11], v[8:9], s[8:9]
	v_mul_f64 v[8:9], v[8:9], 0.5
	v_fma_f64 v[16:17], v[16:17], s[6:7], v[26:27]
	v_fma_f64 v[14:15], v[12:13], 0.5, v[10:11]
	v_fma_f64 v[24:25], v[12:13], s[6:7], v[8:9]
	v_fma_f64 v[12:13], v[22:23], s[8:9], v[28:29]
	;; [unrolled: 1-line block ×3, first 2 shown]
	v_add_f64 v[10:11], v[34:35], v[24:25]
	v_add_f64 v[8:9], v[12:13], v[14:15]
	v_add_f64 v[12:13], v[12:13], -v[14:15]
	v_add_f64 v[14:15], v[34:35], -v[24:25]
	v_fma_f64 v[24:25], v[20:21], s[8:9], v[30:31]
	v_mul_f64 v[20:21], v[18:19], s[8:9]
	v_mul_f64 v[18:19], v[18:19], -0.5
	v_fma_f64 v[20:21], v[16:17], -0.5, v[20:21]
	v_fma_f64 v[26:27], v[16:17], s[6:7], v[18:19]
	v_add_f64 v[16:17], v[22:23], v[20:21]
	v_add_f64 v[18:19], v[24:25], v[26:27]
	v_add_f64 v[20:21], v[22:23], -v[20:21]
	v_add_f64 v[22:23], v[24:25], -v[26:27]
	buffer_load_dword v24, off, s[36:39], 0 offset:992 ; 4-byte Folded Reload
	s_waitcnt vmcnt(0)
	ds_write_b128 v24, v[0:3]
	ds_write_b128 v24, v[8:11] offset:576
	ds_write_b128 v24, v[16:19] offset:1152
	;; [unrolled: 1-line block ×5, first 2 shown]
	s_waitcnt lgkmcnt(0)
	s_barrier
	ds_read_b128 v[0:3], v110 offset:13824
	buffer_load_dword v6, off, s[36:39], 0 offset:996 ; 4-byte Folded Reload
	buffer_load_dword v7, off, s[36:39], 0 offset:1000 ; 4-byte Folded Reload
	;; [unrolled: 1-line block ×4, first 2 shown]
	s_waitcnt vmcnt(0) lgkmcnt(0)
	v_mul_f64 v[4:5], v[8:9], v[2:3]
	v_fma_f64 v[4:5], v[6:7], v[0:1], v[4:5]
	v_mul_f64 v[0:1], v[8:9], v[0:1]
	v_fma_f64 v[6:7], v[6:7], v[2:3], -v[0:1]
	ds_read_b128 v[0:3], v110 offset:27648
	buffer_load_dword v10, off, s[36:39], 0 offset:1028 ; 4-byte Folded Reload
	buffer_load_dword v11, off, s[36:39], 0 offset:1032 ; 4-byte Folded Reload
	;; [unrolled: 1-line block ×4, first 2 shown]
	s_waitcnt vmcnt(0) lgkmcnt(0)
	v_mul_f64 v[8:9], v[12:13], v[2:3]
	v_fma_f64 v[8:9], v[10:11], v[0:1], v[8:9]
	v_mul_f64 v[0:1], v[12:13], v[0:1]
	v_fma_f64 v[10:11], v[10:11], v[2:3], -v[0:1]
	ds_read_b128 v[0:3], v110 offset:41472
	buffer_load_dword v14, off, s[36:39], 0 offset:1012 ; 4-byte Folded Reload
	buffer_load_dword v15, off, s[36:39], 0 offset:1016 ; 4-byte Folded Reload
	;; [unrolled: 1-line block ×4, first 2 shown]
	s_waitcnt vmcnt(0) lgkmcnt(0)
	v_mul_f64 v[12:13], v[16:17], v[2:3]
	v_fma_f64 v[12:13], v[14:15], v[0:1], v[12:13]
	v_mul_f64 v[0:1], v[16:17], v[0:1]
	v_add_f64 v[92:93], v[4:5], -v[12:13]
	v_fma_f64 v[14:15], v[14:15], v[2:3], -v[0:1]
	ds_read_b128 v[0:3], v110 offset:16128
	s_waitcnt lgkmcnt(0)
	v_mul_f64 v[16:17], v[254:255], v[2:3]
	v_add_f64 v[94:95], v[6:7], -v[14:15]
	v_fma_f64 v[32:33], v[252:253], v[0:1], v[16:17]
	v_mul_f64 v[0:1], v[254:255], v[0:1]
	v_fma_f64 v[34:35], v[252:253], v[2:3], -v[0:1]
	ds_read_b128 v[0:3], v110 offset:29952
	s_waitcnt lgkmcnt(0)
	v_mul_f64 v[16:17], v[238:239], v[2:3]
	v_fma_f64 v[36:37], v[236:237], v[0:1], v[16:17]
	v_mul_f64 v[0:1], v[238:239], v[0:1]
	v_fma_f64 v[38:39], v[236:237], v[2:3], -v[0:1]
	ds_read_b128 v[0:3], v110 offset:43776
	s_waitcnt lgkmcnt(0)
	v_mul_f64 v[16:17], v[234:235], v[2:3]
	;; [unrolled: 6-line block ×14, first 2 shown]
	v_fma_f64 v[88:89], v[180:181], v[0:1], v[16:17]
	v_mul_f64 v[0:1], v[182:183], v[0:1]
	v_fma_f64 v[90:91], v[180:181], v[2:3], -v[0:1]
	ds_read_b128 v[0:3], v110
	s_waitcnt lgkmcnt(0)
	v_add_f64 v[28:29], v[0:1], -v[8:9]
	v_add_f64 v[30:31], v[2:3], -v[10:11]
	v_fma_f64 v[8:9], v[0:1], 2.0, -v[28:29]
	v_fma_f64 v[10:11], v[2:3], 2.0, -v[30:31]
	;; [unrolled: 1-line block ×4, first 2 shown]
	v_add_f64 v[0:1], v[8:9], -v[0:1]
	v_add_f64 v[2:3], v[10:11], -v[2:3]
	v_fma_f64 v[4:5], v[8:9], 2.0, -v[0:1]
	v_fma_f64 v[6:7], v[10:11], 2.0, -v[2:3]
	ds_read_b128 v[8:11], v110 offset:2304
	ds_read_b128 v[12:15], v110 offset:4608
	;; [unrolled: 1-line block ×5, first 2 shown]
	s_waitcnt lgkmcnt(0)
	s_barrier
	ds_write_b128 v110, v[4:7]
	v_add_f64 v[4:5], v[28:29], v[94:95]
	v_add_f64 v[6:7], v[30:31], -v[92:93]
	v_fma_f64 v[28:29], v[28:29], 2.0, -v[4:5]
	v_fma_f64 v[30:31], v[30:31], 2.0, -v[6:7]
	ds_write_b128 v110, v[28:31] offset:3456
	ds_write_b128 v110, v[0:3] offset:6912
	;; [unrolled: 1-line block ×3, first 2 shown]
	v_add_f64 v[28:29], v[8:9], -v[36:37]
	v_add_f64 v[30:31], v[10:11], -v[38:39]
	;; [unrolled: 1-line block ×6, first 2 shown]
	v_fma_f64 v[4:5], v[8:9], 2.0, -v[28:29]
	v_add_f64 v[8:9], v[32:33], -v[40:41]
	v_fma_f64 v[6:7], v[10:11], 2.0, -v[30:31]
	v_add_f64 v[10:11], v[34:35], -v[42:43]
	v_add_f64 v[40:41], v[16:17], -v[60:61]
	;; [unrolled: 1-line block ×3, first 2 shown]
	v_fma_f64 v[62:63], v[24:25], 2.0, -v[64:65]
	v_fma_f64 v[26:27], v[26:27], 2.0, -v[66:67]
	;; [unrolled: 1-line block ×3, first 2 shown]
	buffer_load_dword v32, off, s[36:39], 0 offset:1084 ; 4-byte Folded Reload
	v_fma_f64 v[2:3], v[34:35], 2.0, -v[10:11]
	v_fma_f64 v[18:19], v[18:19], 2.0, -v[42:43]
	v_add_f64 v[0:1], v[4:5], -v[0:1]
	v_add_f64 v[2:3], v[6:7], -v[2:3]
	v_fma_f64 v[4:5], v[4:5], 2.0, -v[0:1]
	v_fma_f64 v[6:7], v[6:7], 2.0, -v[2:3]
	s_waitcnt vmcnt(0)
	ds_write_b128 v32, v[4:7]
	v_add_f64 v[4:5], v[28:29], v[10:11]
	v_add_f64 v[6:7], v[30:31], -v[8:9]
	v_fma_f64 v[8:9], v[28:29], 2.0, -v[4:5]
	v_fma_f64 v[10:11], v[30:31], 2.0, -v[6:7]
	ds_write_b128 v32, v[8:11] offset:3456
	ds_write_b128 v32, v[0:3] offset:6912
	;; [unrolled: 1-line block ×3, first 2 shown]
	v_add_f64 v[28:29], v[12:13], -v[48:49]
	v_add_f64 v[30:31], v[14:15], -v[50:51]
	;; [unrolled: 1-line block ×4, first 2 shown]
	buffer_load_dword v180, off, s[36:39], 0 offset:372 ; 4-byte Folded Reload
	buffer_load_dword v181, off, s[36:39], 0 offset:376 ; 4-byte Folded Reload
	v_fma_f64 v[10:11], v[56:57], 2.0, -v[38:39]
	v_add_f64 v[38:39], v[42:43], -v[38:39]
	v_add_f64 v[56:57], v[20:21], -v[72:73]
	v_fma_f64 v[32:33], v[12:13], 2.0, -v[28:29]
	v_fma_f64 v[34:35], v[14:15], 2.0, -v[30:31]
	;; [unrolled: 1-line block ×4, first 2 shown]
	v_add_f64 v[6:7], v[28:29], v[6:7]
	v_add_f64 v[8:9], v[30:31], -v[4:5]
	v_fma_f64 v[44:45], v[16:17], 2.0, -v[40:41]
	v_fma_f64 v[12:13], v[58:59], 2.0, -v[36:37]
	v_add_f64 v[36:37], v[40:41], v[36:37]
	v_fma_f64 v[52:53], v[20:21], 2.0, -v[56:57]
	v_add_f64 v[0:1], v[32:33], -v[0:1]
	v_add_f64 v[2:3], v[34:35], -v[2:3]
	v_fma_f64 v[28:29], v[28:29], 2.0, -v[6:7]
	v_fma_f64 v[30:31], v[30:31], 2.0, -v[8:9]
	v_add_f64 v[10:11], v[44:45], -v[10:11]
	v_add_f64 v[12:13], v[18:19], -v[12:13]
	v_fma_f64 v[20:21], v[42:43], 2.0, -v[38:39]
	v_add_f64 v[58:59], v[22:23], -v[74:75]
	v_fma_f64 v[14:15], v[32:33], 2.0, -v[0:1]
	v_fma_f64 v[16:17], v[34:35], 2.0, -v[2:3]
	ds_write_b128 v110, v[14:17] offset:14976
	ds_write_b128 v110, v[28:31] offset:18432
	;; [unrolled: 1-line block ×4, first 2 shown]
	buffer_load_dword v0, off, s[36:39], 0 offset:1072 ; 4-byte Folded Reload
	v_fma_f64 v[32:33], v[44:45], 2.0, -v[10:11]
	v_fma_f64 v[34:35], v[18:19], 2.0, -v[12:13]
	;; [unrolled: 1-line block ×3, first 2 shown]
	s_waitcnt vmcnt(0)
	ds_write_b128 v0, v[32:35] offset:27648
	ds_write_b128 v0, v[18:21] offset:31104
	;; [unrolled: 1-line block ×4, first 2 shown]
	buffer_load_dword v0, off, s[36:39], 0 offset:1076 ; 4-byte Folded Reload
	v_add_f64 v[44:45], v[68:69], -v[76:77]
	v_add_f64 v[46:47], v[70:71], -v[78:79]
	v_fma_f64 v[54:55], v[22:23], 2.0, -v[58:59]
	v_add_f64 v[50:51], v[80:81], -v[88:89]
	v_add_f64 v[48:49], v[82:83], -v[90:91]
	v_mad_u64_u32 v[4:5], s[6:7], s2, v180, 0
	v_fma_f64 v[22:23], v[68:69], 2.0, -v[44:45]
	v_fma_f64 v[60:61], v[70:71], 2.0, -v[46:47]
	v_add_f64 v[40:41], v[56:57], v[46:47]
	v_add_f64 v[42:43], v[58:59], -v[44:45]
	v_fma_f64 v[68:69], v[80:81], 2.0, -v[50:51]
	v_fma_f64 v[70:71], v[82:83], 2.0, -v[48:49]
	v_add_f64 v[48:49], v[64:65], v[48:49]
	v_add_f64 v[50:51], v[66:67], -v[50:51]
	v_add_f64 v[22:23], v[52:53], -v[22:23]
	;; [unrolled: 1-line block ×3, first 2 shown]
	v_fma_f64 v[56:57], v[56:57], 2.0, -v[40:41]
	v_fma_f64 v[58:59], v[58:59], 2.0, -v[42:43]
	v_add_f64 v[44:45], v[62:63], -v[68:69]
	v_add_f64 v[46:47], v[26:27], -v[70:71]
	v_fma_f64 v[64:65], v[64:65], 2.0, -v[48:49]
	v_fma_f64 v[66:67], v[66:67], 2.0, -v[50:51]
	;; [unrolled: 1-line block ×4, first 2 shown]
	s_waitcnt vmcnt(0)
	ds_write_b128 v0, v[52:55]
	ds_write_b128 v0, v[56:59] offset:3456
	ds_write_b128 v0, v[22:25] offset:6912
	;; [unrolled: 1-line block ×3, first 2 shown]
	buffer_load_dword v0, off, s[36:39], 0 offset:1080 ; 4-byte Folded Reload
	v_fma_f64 v[60:61], v[62:63], 2.0, -v[44:45]
	v_fma_f64 v[62:63], v[26:27], 2.0, -v[46:47]
	s_waitcnt vmcnt(0)
	ds_write_b128 v0, v[60:63] offset:41472
	ds_write_b128 v0, v[64:67] offset:44928
	;; [unrolled: 1-line block ×4, first 2 shown]
	s_waitcnt lgkmcnt(0)
	s_barrier
	ds_read_b128 v[6:9], v110
	ds_read_b128 v[10:13], v110 offset:13824
	ds_read_b128 v[14:17], v110 offset:27648
	;; [unrolled: 1-line block ×10, first 2 shown]
	s_waitcnt lgkmcnt(9)
	v_mul_f64 v[62:63], v[170:171], v[12:13]
	v_mul_f64 v[64:65], v[170:171], v[10:11]
	ds_read_b128 v[46:49], v110 offset:46080
	ds_read_b128 v[50:53], v110 offset:6912
	;; [unrolled: 1-line block ×3, first 2 shown]
	s_waitcnt lgkmcnt(10)
	v_mul_f64 v[70:71], v[178:179], v[20:21]
	v_mul_f64 v[72:73], v[178:179], v[18:19]
	s_waitcnt lgkmcnt(4)
	v_mul_f64 v[86:87], v[146:147], v[40:41]
	v_mul_f64 v[66:67], v[174:175], v[16:17]
	;; [unrolled: 3-line block ×3, first 2 shown]
	v_mul_f64 v[68:69], v[174:175], v[14:15]
	ds_read_b128 v[58:61], v110 offset:34560
	v_fma_f64 v[62:63], v[168:169], v[10:11], v[62:63]
	v_fma_f64 v[64:65], v[168:169], v[12:13], -v[64:65]
	ds_read_b128 v[10:13], v110 offset:48384
	v_mul_f64 v[74:75], v[166:167], v[28:29]
	v_mul_f64 v[76:77], v[166:167], v[26:27]
	v_fma_f64 v[70:71], v[176:177], v[18:19], v[70:71]
	v_fma_f64 v[72:73], v[176:177], v[20:21], -v[72:73]
	v_mul_f64 v[78:79], v[158:159], v[32:33]
	v_mul_f64 v[80:81], v[158:159], v[30:31]
	ds_read_b128 v[18:21], v110 offset:23040
	v_mul_f64 v[88:89], v[146:147], v[38:39]
	v_fma_f64 v[86:87], v[144:145], v[38:39], v[86:87]
	v_mul_f64 v[38:39], v[162:163], v[44:45]
	v_mul_f64 v[82:83], v[154:155], v[36:37]
	;; [unrolled: 1-line block ×3, first 2 shown]
	v_fma_f64 v[54:55], v[140:141], v[54:55], v[96:97]
	v_fma_f64 v[56:57], v[140:141], v[56:57], -v[98:99]
	s_waitcnt lgkmcnt(2)
	v_mul_f64 v[96:97], v[138:139], v[60:61]
	v_mul_f64 v[98:99], v[138:139], v[58:59]
	s_waitcnt lgkmcnt(1)
	v_mul_f64 v[102:103], v[130:131], v[12:13]
	v_mul_f64 v[108:109], v[130:131], v[10:11]
	;; [unrolled: 3-line block ×3, first 2 shown]
	v_fma_f64 v[66:67], v[172:173], v[14:15], v[66:67]
	v_fma_f64 v[68:69], v[172:173], v[16:17], -v[68:69]
	ds_read_b128 v[14:17], v110 offset:9216
	v_fma_f64 v[74:75], v[164:165], v[26:27], v[74:75]
	v_fma_f64 v[76:77], v[164:165], v[28:29], -v[76:77]
	v_fma_f64 v[78:79], v[156:157], v[30:31], v[78:79]
	v_fma_f64 v[80:81], v[156:157], v[32:33], -v[80:81]
	ds_read_b128 v[26:29], v110 offset:36864
	ds_read_b128 v[30:33], v110 offset:50688
	v_fma_f64 v[88:89], v[144:145], v[40:41], -v[88:89]
	v_fma_f64 v[100:101], v[160:161], v[42:43], v[38:39]
	ds_read_b128 v[38:41], v110 offset:25344
	v_mul_f64 v[90:91], v[162:163], v[42:43]
	v_mul_f64 v[92:93], v[150:151], v[48:49]
	;; [unrolled: 1-line block ×3, first 2 shown]
	v_fma_f64 v[82:83], v[152:153], v[34:35], v[82:83]
	v_fma_f64 v[84:85], v[152:153], v[36:37], -v[84:85]
	v_fma_f64 v[58:59], v[136:137], v[58:59], v[96:97]
	v_fma_f64 v[60:61], v[136:137], v[60:61], -v[98:99]
	;; [unrolled: 2-line block ×4, first 2 shown]
	s_waitcnt lgkmcnt(2)
	v_mul_f64 v[10:11], v[134:135], v[28:29]
	v_mul_f64 v[12:13], v[134:135], v[26:27]
	s_waitcnt lgkmcnt(0)
	v_mul_f64 v[119:120], v[113:114], v[40:41]
	v_mul_f64 v[113:114], v[113:114], v[38:39]
	ds_read_b128 v[34:37], v110 offset:11520
	v_fma_f64 v[90:91], v[160:161], v[44:45], -v[90:91]
	v_fma_f64 v[92:93], v[148:149], v[46:47], v[92:93]
	v_fma_f64 v[94:95], v[148:149], v[48:49], -v[94:95]
	ds_read_b128 v[42:45], v110 offset:39168
	ds_read_b128 v[46:49], v110 offset:52992
	v_mul_f64 v[18:19], v[126:127], v[32:33]
	v_mul_f64 v[20:21], v[126:127], v[30:31]
	v_fma_f64 v[126:127], v[132:133], v[26:27], v[10:11]
	s_waitcnt lgkmcnt(1)
	v_mul_f64 v[121:122], v[106:107], v[44:45]
	v_mul_f64 v[106:107], v[106:107], v[42:43]
	v_fma_f64 v[128:129], v[132:133], v[28:29], -v[12:13]
	v_fma_f64 v[119:120], v[111:112], v[38:39], v[119:120]
	v_fma_f64 v[111:112], v[111:112], v[40:41], -v[113:114]
	v_add_f64 v[26:27], v[6:7], -v[66:67]
	v_add_f64 v[28:29], v[8:9], -v[68:69]
	;; [unrolled: 1-line block ×8, first 2 shown]
	v_fma_f64 v[130:131], v[124:125], v[30:31], v[18:19]
	v_fma_f64 v[123:124], v[124:125], v[32:33], -v[20:21]
	v_fma_f64 v[113:114], v[104:105], v[42:43], v[121:122]
	v_fma_f64 v[104:105], v[104:105], v[44:45], -v[106:107]
	v_fma_f64 v[30:31], v[6:7], 2.0, -v[26:27]
	v_fma_f64 v[32:33], v[8:9], 2.0, -v[28:29]
	;; [unrolled: 1-line block ×8, first 2 shown]
	s_waitcnt lgkmcnt(0)
	v_mul_f64 v[22:23], v[117:118], v[48:49]
	v_mul_f64 v[24:25], v[117:118], v[46:47]
	v_add_f64 v[6:7], v[30:31], -v[6:7]
	v_add_f64 v[8:9], v[32:33], -v[8:9]
	;; [unrolled: 1-line block ×6, first 2 shown]
	v_fma_f64 v[70:71], v[115:116], v[46:47], v[22:23]
	v_fma_f64 v[72:73], v[115:116], v[48:49], -v[24:25]
	v_fma_f64 v[22:23], v[30:31], 2.0, -v[6:7]
	v_fma_f64 v[24:25], v[32:33], 2.0, -v[8:9]
	v_add_f64 v[74:75], v[50:51], -v[58:59]
	v_add_f64 v[76:77], v[52:53], -v[60:61]
	v_fma_f64 v[30:31], v[42:43], 2.0, -v[18:19]
	v_fma_f64 v[32:33], v[44:45], 2.0, -v[20:21]
	v_add_f64 v[44:45], v[86:87], -v[92:93]
	v_add_f64 v[42:43], v[88:89], -v[94:95]
	;; [unrolled: 1-line block ×4, first 2 shown]
	v_fma_f64 v[58:59], v[0:1], 2.0, -v[62:63]
	v_fma_f64 v[60:61], v[2:3], 2.0, -v[64:65]
	;; [unrolled: 1-line block ×8, first 2 shown]
	v_add_f64 v[0:1], v[66:67], v[40:41]
	v_add_f64 v[2:3], v[68:69], -v[38:39]
	v_add_f64 v[42:43], v[62:63], v[42:43]
	v_add_f64 v[44:45], v[64:65], -v[44:45]
	v_add_f64 v[38:39], v[58:59], -v[46:47]
	v_add_f64 v[40:41], v[60:61], -v[48:49]
	v_add_f64 v[46:47], v[82:83], -v[50:51]
	v_add_f64 v[48:49], v[84:85], -v[52:53]
	v_fma_f64 v[50:51], v[66:67], 2.0, -v[0:1]
	v_fma_f64 v[52:53], v[68:69], 2.0, -v[2:3]
	v_add_f64 v[66:67], v[74:75], v[80:81]
	v_add_f64 v[68:69], v[76:77], -v[78:79]
	v_fma_f64 v[54:55], v[58:59], 2.0, -v[38:39]
	v_fma_f64 v[56:57], v[60:61], 2.0, -v[40:41]
	v_fma_f64 v[58:59], v[62:63], 2.0, -v[42:43]
	v_fma_f64 v[60:61], v[64:65], 2.0, -v[44:45]
	v_fma_f64 v[62:63], v[82:83], 2.0, -v[46:47]
	v_fma_f64 v[64:65], v[84:85], 2.0, -v[48:49]
	v_add_f64 v[86:87], v[14:15], -v[126:127]
	v_add_f64 v[88:89], v[16:17], -v[128:129]
	;; [unrolled: 1-line block ×8, first 2 shown]
	v_fma_f64 v[90:91], v[14:15], 2.0, -v[86:87]
	v_fma_f64 v[92:93], v[16:17], 2.0, -v[88:89]
	;; [unrolled: 1-line block ×8, first 2 shown]
	v_add_f64 v[10:11], v[26:27], v[10:11]
	v_add_f64 v[12:13], v[28:29], -v[12:13]
	v_fma_f64 v[14:15], v[74:75], 2.0, -v[66:67]
	v_fma_f64 v[16:17], v[76:77], 2.0, -v[68:69]
	v_add_f64 v[34:35], v[90:91], -v[70:71]
	v_add_f64 v[36:37], v[92:93], -v[72:73]
	v_add_f64 v[70:71], v[86:87], v[80:81]
	v_add_f64 v[72:73], v[88:89], -v[78:79]
	v_add_f64 v[74:75], v[98:99], -v[102:103]
	;; [unrolled: 1-line block ×3, first 2 shown]
	v_add_f64 v[78:79], v[94:95], v[84:85]
	v_add_f64 v[80:81], v[96:97], -v[82:83]
	v_fma_f64 v[26:27], v[26:27], 2.0, -v[10:11]
	v_fma_f64 v[28:29], v[28:29], 2.0, -v[12:13]
	;; [unrolled: 1-line block ×10, first 2 shown]
	ds_write_b128 v110, v[22:25]
	ds_write_b128 v110, v[26:29] offset:13824
	ds_write_b128 v110, v[6:9] offset:27648
	;; [unrolled: 1-line block ×23, first 2 shown]
	s_waitcnt lgkmcnt(0)
	s_barrier
	ds_read_b128 v[0:3], v110
	buffer_load_dword v11, off, s[36:39], 0 offset:132 ; 4-byte Folded Reload
	buffer_load_dword v12, off, s[36:39], 0 offset:136 ; 4-byte Folded Reload
	;; [unrolled: 1-line block ×4, first 2 shown]
	s_waitcnt vmcnt(0) lgkmcnt(0)
	v_mul_f64 v[6:7], v[13:14], v[2:3]
	v_mad_u64_u32 v[8:9], s[2:3], s3, v180, v[5:6]
	v_mul_f64 v[9:10], v[13:14], v[0:1]
	buffer_load_dword v13, off, s[36:39], 0 offset:396 ; 4-byte Folded Reload
	v_fma_f64 v[6:7], v[11:12], v[0:1], v[6:7]
	v_mov_b32_e32 v0, v11
	v_mov_b32_e32 v1, v12
	;; [unrolled: 1-line block ×3, first 2 shown]
	v_lshlrev_b64 v[4:5], 4, v[4:5]
	v_fma_f64 v[8:9], v[0:1], v[2:3], -v[9:10]
	v_add_co_u32_e32 v22, vcc, s4, v4
	v_mov_b32_e32 v4, s5
	v_addc_co_u32_e32 v23, vcc, v4, v5, vcc
	s_mul_i32 s4, s1, 0x2400
	s_mul_hi_u32 s5, s0, 0x2400
	s_add_i32 s4, s5, s4
	s_mul_i32 s5, s0, 0x2400
	s_waitcnt vmcnt(0)
	v_mad_u64_u32 v[11:12], s[2:3], s0, v13, 0
	s_mov_b32 s2, 0xbda12f68
	s_mov_b32 s3, 0x3f32f684
	v_mov_b32_e32 v0, v12
	v_mad_u64_u32 v[12:13], s[6:7], s1, v13, v[0:1]
	ds_read_b128 v[0:3], v110 offset:9216
	buffer_load_dword v17, off, s[36:39], 0 offset:100 ; 4-byte Folded Reload
	buffer_load_dword v18, off, s[36:39], 0 offset:104 ; 4-byte Folded Reload
	;; [unrolled: 1-line block ×4, first 2 shown]
	v_mul_f64 v[6:7], v[6:7], s[2:3]
	v_mul_f64 v[8:9], v[8:9], s[2:3]
	v_lshlrev_b64 v[4:5], 4, v[11:12]
	s_waitcnt vmcnt(0) lgkmcnt(0)
	v_mul_f64 v[13:14], v[19:20], v[2:3]
	v_mul_f64 v[15:16], v[19:20], v[0:1]
	v_fma_f64 v[10:11], v[17:18], v[0:1], v[13:14]
	v_add_co_u32_e32 v14, vcc, v22, v4
	v_fma_f64 v[12:13], v[17:18], v[2:3], -v[15:16]
	v_addc_co_u32_e32 v15, vcc, v23, v5, vcc
	global_store_dwordx4 v[14:15], v[6:9], off
	ds_read_b128 v[0:3], v110 offset:18432
	v_mul_f64 v[4:5], v[10:11], s[2:3]
	buffer_load_dword v8, off, s[36:39], 0 offset:84 ; 4-byte Folded Reload
	buffer_load_dword v9, off, s[36:39], 0 offset:88 ; 4-byte Folded Reload
	;; [unrolled: 1-line block ×4, first 2 shown]
	v_add_co_u32_e32 v14, vcc, s5, v14
	v_mul_f64 v[6:7], v[12:13], s[2:3]
	s_waitcnt vmcnt(0) lgkmcnt(0)
	v_mul_f64 v[12:13], v[10:11], v[2:3]
	v_mul_f64 v[16:17], v[10:11], v[0:1]
	v_mov_b32_e32 v19, v9
	v_mov_b32_e32 v18, v8
	ds_read_b128 v[8:11], v110 offset:27648
	v_fma_f64 v[0:1], v[18:19], v[0:1], v[12:13]
	v_fma_f64 v[2:3], v[18:19], v[2:3], -v[16:17]
	buffer_load_dword v18, off, s[36:39], 0 offset:68 ; 4-byte Folded Reload
	buffer_load_dword v19, off, s[36:39], 0 offset:72 ; 4-byte Folded Reload
	;; [unrolled: 1-line block ×4, first 2 shown]
	v_mov_b32_e32 v16, s4
	v_addc_co_u32_e32 v15, vcc, v15, v16, vcc
	global_store_dwordx4 v[14:15], v[4:7], off
	ds_read_b128 v[4:7], v110 offset:36864
	buffer_load_dword v24, off, s[36:39], 0 offset:52 ; 4-byte Folded Reload
	buffer_load_dword v25, off, s[36:39], 0 offset:56 ; 4-byte Folded Reload
	;; [unrolled: 1-line block ×4, first 2 shown]
	v_mul_f64 v[0:1], v[0:1], s[2:3]
	v_mul_f64 v[2:3], v[2:3], s[2:3]
	v_add_co_u32_e32 v14, vcc, s5, v14
	s_waitcnt vmcnt(5) lgkmcnt(1)
	v_mul_f64 v[12:13], v[20:21], v[10:11]
	v_mul_f64 v[16:17], v[20:21], v[8:9]
	buffer_load_dword v20, off, s[36:39], 0 offset:16 ; 4-byte Folded Reload
	v_fma_f64 v[8:9], v[18:19], v[8:9], v[12:13]
	v_fma_f64 v[10:11], v[18:19], v[10:11], -v[16:17]
	v_mov_b32_e32 v12, s4
	v_addc_co_u32_e32 v15, vcc, v15, v12, vcc
	global_store_dwordx4 v[14:15], v[0:3], off
	s_waitcnt vmcnt(2) lgkmcnt(0)
	v_mul_f64 v[12:13], v[26:27], v[6:7]
	v_mul_f64 v[16:17], v[26:27], v[4:5]
	;; [unrolled: 1-line block ×4, first 2 shown]
	v_add_co_u32_e32 v14, vcc, s5, v14
	v_mov_b32_e32 v18, s4
	v_addc_co_u32_e32 v15, vcc, v15, v18, vcc
	v_fma_f64 v[8:9], v[24:25], v[4:5], v[12:13]
	v_fma_f64 v[10:11], v[24:25], v[6:7], -v[16:17]
	global_store_dwordx4 v[14:15], v[0:3], off
	ds_read_b128 v[4:7], v110 offset:46080
	buffer_load_dword v0, off, s[36:39], 0 offset:36 ; 4-byte Folded Reload
	buffer_load_dword v1, off, s[36:39], 0 offset:40 ; 4-byte Folded Reload
	;; [unrolled: 1-line block ×4, first 2 shown]
	s_waitcnt vmcnt(6)
	v_mad_u64_u32 v[12:13], s[6:7], s0, v20, 0
	s_waitcnt vmcnt(0) lgkmcnt(0)
	v_mul_f64 v[16:17], v[2:3], v[6:7]
	v_mul_f64 v[18:19], v[2:3], v[4:5]
	v_mov_b32_e32 v25, v1
	v_mov_b32_e32 v24, v0
	v_mul_f64 v[0:1], v[8:9], s[2:3]
	v_mov_b32_e32 v8, v13
	v_mul_f64 v[2:3], v[10:11], s[2:3]
	v_mad_u64_u32 v[20:21], s[6:7], s1, v20, v[8:9]
	ds_read_b128 v[8:11], v110 offset:2304
	v_fma_f64 v[4:5], v[24:25], v[4:5], v[16:17]
	v_fma_f64 v[6:7], v[24:25], v[6:7], -v[18:19]
	buffer_load_dword v24, off, s[36:39], 0 offset:20 ; 4-byte Folded Reload
	buffer_load_dword v25, off, s[36:39], 0 offset:24 ; 4-byte Folded Reload
	;; [unrolled: 1-line block ×4, first 2 shown]
	v_mov_b32_e32 v13, v20
	v_mov_b32_e32 v20, 0x4800
	v_mad_u64_u32 v[14:15], s[6:7], s0, v20, v[14:15]
	v_lshlrev_b64 v[12:13], 4, v[12:13]
	v_mul_f64 v[4:5], v[4:5], s[2:3]
	v_mul_f64 v[6:7], v[6:7], s[2:3]
	v_add_co_u32_e32 v12, vcc, v22, v12
	s_mul_i32 s6, s1, 0x4800
	v_addc_co_u32_e32 v13, vcc, v23, v13, vcc
	v_add_u32_e32 v15, s6, v15
	global_store_dwordx4 v[12:13], v[0:3], off
	global_store_dwordx4 v[14:15], v[4:7], off
	ds_read_b128 v[0:3], v110 offset:11520
	s_mul_hi_u32 s6, s0, 0xffff5500
	s_mul_i32 s1, s1, 0xffff5500
	s_sub_i32 s6, s6, s0
	s_add_i32 s1, s6, s1
	s_mul_i32 s0, s0, 0xffff5500
	v_add_co_u32_e32 v14, vcc, s0, v14
	s_waitcnt vmcnt(2) lgkmcnt(1)
	v_mul_f64 v[16:17], v[26:27], v[10:11]
	v_mul_f64 v[18:19], v[26:27], v[8:9]
	v_fma_f64 v[8:9], v[24:25], v[8:9], v[16:17]
	v_fma_f64 v[10:11], v[24:25], v[10:11], -v[18:19]
	v_mul_f64 v[4:5], v[8:9], s[2:3]
	v_mul_f64 v[6:7], v[10:11], s[2:3]
	buffer_load_dword v8, off, s[36:39], 0 offset:380 ; 4-byte Folded Reload
	buffer_load_dword v9, off, s[36:39], 0 offset:384 ; 4-byte Folded Reload
	;; [unrolled: 1-line block ×4, first 2 shown]
	s_waitcnt vmcnt(0) lgkmcnt(0)
	v_mul_f64 v[12:13], v[10:11], v[2:3]
	v_mul_f64 v[16:17], v[10:11], v[0:1]
	v_mov_b32_e32 v19, v9
	v_mov_b32_e32 v18, v8
	ds_read_b128 v[8:11], v110 offset:20736
	v_fma_f64 v[0:1], v[18:19], v[0:1], v[12:13]
	v_fma_f64 v[2:3], v[18:19], v[2:3], -v[16:17]
	buffer_load_dword v18, off, s[36:39], 0 offset:356 ; 4-byte Folded Reload
	buffer_load_dword v19, off, s[36:39], 0 offset:360 ; 4-byte Folded Reload
	;; [unrolled: 1-line block ×4, first 2 shown]
	v_mov_b32_e32 v16, s1
	v_addc_co_u32_e32 v15, vcc, v15, v16, vcc
	global_store_dwordx4 v[14:15], v[4:7], off
	ds_read_b128 v[4:7], v110 offset:29952
	v_mul_f64 v[0:1], v[0:1], s[2:3]
	v_mul_f64 v[2:3], v[2:3], s[2:3]
	v_add_co_u32_e32 v14, vcc, s5, v14
	s_waitcnt vmcnt(1) lgkmcnt(1)
	v_mul_f64 v[12:13], v[20:21], v[10:11]
	v_mul_f64 v[16:17], v[20:21], v[8:9]
	v_fma_f64 v[8:9], v[18:19], v[8:9], v[12:13]
	v_fma_f64 v[10:11], v[18:19], v[10:11], -v[16:17]
	buffer_load_dword v18, off, s[36:39], 0 offset:340 ; 4-byte Folded Reload
	buffer_load_dword v19, off, s[36:39], 0 offset:344 ; 4-byte Folded Reload
	buffer_load_dword v20, off, s[36:39], 0 offset:348 ; 4-byte Folded Reload
	buffer_load_dword v21, off, s[36:39], 0 offset:352 ; 4-byte Folded Reload
	v_mov_b32_e32 v12, s4
	v_addc_co_u32_e32 v15, vcc, v15, v12, vcc
	global_store_dwordx4 v[14:15], v[0:3], off
	v_add_co_u32_e32 v14, vcc, s5, v14
	v_mul_f64 v[0:1], v[8:9], s[2:3]
	v_mul_f64 v[2:3], v[10:11], s[2:3]
	ds_read_b128 v[8:11], v110 offset:39168
	s_waitcnt vmcnt(1) lgkmcnt(1)
	v_mul_f64 v[12:13], v[20:21], v[6:7]
	v_mul_f64 v[16:17], v[20:21], v[4:5]
	v_fma_f64 v[4:5], v[18:19], v[4:5], v[12:13]
	v_fma_f64 v[6:7], v[18:19], v[6:7], -v[16:17]
	buffer_load_dword v18, off, s[36:39], 0 offset:324 ; 4-byte Folded Reload
	buffer_load_dword v19, off, s[36:39], 0 offset:328 ; 4-byte Folded Reload
	buffer_load_dword v20, off, s[36:39], 0 offset:332 ; 4-byte Folded Reload
	buffer_load_dword v21, off, s[36:39], 0 offset:336 ; 4-byte Folded Reload
	v_mov_b32_e32 v16, s4
	v_addc_co_u32_e32 v15, vcc, v15, v16, vcc
	global_store_dwordx4 v[14:15], v[0:3], off
	v_add_co_u32_e32 v14, vcc, s5, v14
	v_mul_f64 v[0:1], v[4:5], s[2:3]
	v_mul_f64 v[2:3], v[6:7], s[2:3]
	ds_read_b128 v[4:7], v110 offset:48384
	;; [unrolled: 16-line block ×11, first 2 shown]
	s_waitcnt vmcnt(1) lgkmcnt(1)
	v_mul_f64 v[12:13], v[20:21], v[6:7]
	v_mul_f64 v[16:17], v[20:21], v[4:5]
	v_fma_f64 v[4:5], v[18:19], v[4:5], v[12:13]
	v_fma_f64 v[6:7], v[18:19], v[6:7], -v[16:17]
	buffer_load_dword v18, off, s[36:39], 0 offset:260 ; 4-byte Folded Reload
	buffer_load_dword v19, off, s[36:39], 0 offset:264 ; 4-byte Folded Reload
	;; [unrolled: 1-line block ×4, first 2 shown]
	v_mov_b32_e32 v16, s1
	v_addc_co_u32_e32 v15, vcc, v15, v16, vcc
	global_store_dwordx4 v[14:15], v[0:3], off
	s_waitcnt vmcnt(1) lgkmcnt(0)
	v_mul_f64 v[12:13], v[20:21], v[10:11]
	v_mul_f64 v[16:17], v[20:21], v[8:9]
	v_mul_f64 v[2:3], v[6:7], s[2:3]
	v_mul_f64 v[0:1], v[4:5], s[2:3]
	v_add_co_u32_e32 v4, vcc, s5, v14
	v_mov_b32_e32 v5, s4
	v_addc_co_u32_e32 v5, vcc, v15, v5, vcc
	v_fma_f64 v[12:13], v[18:19], v[8:9], v[12:13]
	ds_read_b128 v[6:9], v110 offset:34560
	buffer_load_dword v20, off, s[36:39], 0 offset:228 ; 4-byte Folded Reload
	buffer_load_dword v21, off, s[36:39], 0 offset:232 ; 4-byte Folded Reload
	;; [unrolled: 1-line block ×4, first 2 shown]
	v_fma_f64 v[16:17], v[18:19], v[10:11], -v[16:17]
	global_store_dwordx4 v[4:5], v[0:3], off
	v_add_co_u32_e32 v4, vcc, s5, v4
	ds_read_b128 v[0:3], v110 offset:43776
	v_mul_f64 v[10:11], v[12:13], s[2:3]
	v_mul_f64 v[12:13], v[16:17], s[2:3]
	v_mov_b32_e32 v16, s4
	v_addc_co_u32_e32 v5, vcc, v5, v16, vcc
	global_store_dwordx4 v[4:5], v[10:13], off
	ds_read_b128 v[10:13], v110 offset:52992
	s_waitcnt vmcnt(2) lgkmcnt(2)
	v_mul_f64 v[14:15], v[22:23], v[8:9]
	v_mul_f64 v[18:19], v[22:23], v[6:7]
	v_add_co_u32_e32 v22, vcc, s5, v4
	v_mov_b32_e32 v4, s4
	v_fma_f64 v[6:7], v[20:21], v[6:7], v[14:15]
	v_fma_f64 v[8:9], v[20:21], v[8:9], -v[18:19]
	buffer_load_dword v18, off, s[36:39], 0 offset:116 ; 4-byte Folded Reload
	buffer_load_dword v19, off, s[36:39], 0 offset:120 ; 4-byte Folded Reload
	;; [unrolled: 1-line block ×4, first 2 shown]
	buffer_load_dword v25, off, s[36:39], 0 ; 4-byte Folded Reload
	buffer_load_dword v26, off, s[36:39], 0 offset:4 ; 4-byte Folded Reload
	buffer_load_dword v27, off, s[36:39], 0 offset:8 ; 4-byte Folded Reload
	;; [unrolled: 1-line block ×3, first 2 shown]
	v_mul_f64 v[6:7], v[6:7], s[2:3]
	v_mul_f64 v[8:9], v[8:9], s[2:3]
	s_waitcnt vmcnt(4) lgkmcnt(1)
	v_mul_f64 v[14:15], v[20:21], v[2:3]
	v_mul_f64 v[16:17], v[20:21], v[0:1]
	v_mov_b32_e32 v24, v19
	v_mov_b32_e32 v23, v18
	s_waitcnt vmcnt(0) lgkmcnt(0)
	v_mul_f64 v[18:19], v[27:28], v[12:13]
	v_mul_f64 v[20:21], v[27:28], v[10:11]
	v_fma_f64 v[0:1], v[23:24], v[0:1], v[14:15]
	v_fma_f64 v[2:3], v[23:24], v[2:3], -v[16:17]
	v_addc_co_u32_e32 v23, vcc, v5, v4, vcc
	v_fma_f64 v[4:5], v[25:26], v[10:11], v[18:19]
	v_fma_f64 v[10:11], v[25:26], v[12:13], -v[20:21]
	global_store_dwordx4 v[22:23], v[6:9], off
	v_mul_f64 v[0:1], v[0:1], s[2:3]
	v_mul_f64 v[2:3], v[2:3], s[2:3]
	v_add_co_u32_e32 v8, vcc, s5, v22
	v_mul_f64 v[4:5], v[4:5], s[2:3]
	v_mul_f64 v[6:7], v[10:11], s[2:3]
	v_mov_b32_e32 v9, s4
	v_addc_co_u32_e32 v9, vcc, v23, v9, vcc
	global_store_dwordx4 v[8:9], v[0:3], off
	s_nop 0
	v_add_co_u32_e32 v0, vcc, s5, v8
	v_mov_b32_e32 v1, s4
	v_addc_co_u32_e32 v1, vcc, v9, v1, vcc
	global_store_dwordx4 v[0:1], v[4:7], off
.LBB0_2:
	s_endpgm
	.section	.rodata,"a",@progbits
	.p2align	6, 0x0
	.amdhsa_kernel bluestein_single_fwd_len3456_dim1_dp_op_CI_CI
		.amdhsa_group_segment_fixed_size 55296
		.amdhsa_private_segment_fixed_size 1092
		.amdhsa_kernarg_size 104
		.amdhsa_user_sgpr_count 6
		.amdhsa_user_sgpr_private_segment_buffer 1
		.amdhsa_user_sgpr_dispatch_ptr 0
		.amdhsa_user_sgpr_queue_ptr 0
		.amdhsa_user_sgpr_kernarg_segment_ptr 1
		.amdhsa_user_sgpr_dispatch_id 0
		.amdhsa_user_sgpr_flat_scratch_init 0
		.amdhsa_user_sgpr_private_segment_size 0
		.amdhsa_uses_dynamic_stack 0
		.amdhsa_system_sgpr_private_segment_wavefront_offset 1
		.amdhsa_system_sgpr_workgroup_id_x 1
		.amdhsa_system_sgpr_workgroup_id_y 0
		.amdhsa_system_sgpr_workgroup_id_z 0
		.amdhsa_system_sgpr_workgroup_info 0
		.amdhsa_system_vgpr_workitem_id 0
		.amdhsa_next_free_vgpr 256
		.amdhsa_next_free_sgpr 40
		.amdhsa_reserve_vcc 1
		.amdhsa_reserve_flat_scratch 0
		.amdhsa_float_round_mode_32 0
		.amdhsa_float_round_mode_16_64 0
		.amdhsa_float_denorm_mode_32 3
		.amdhsa_float_denorm_mode_16_64 3
		.amdhsa_dx10_clamp 1
		.amdhsa_ieee_mode 1
		.amdhsa_fp16_overflow 0
		.amdhsa_exception_fp_ieee_invalid_op 0
		.amdhsa_exception_fp_denorm_src 0
		.amdhsa_exception_fp_ieee_div_zero 0
		.amdhsa_exception_fp_ieee_overflow 0
		.amdhsa_exception_fp_ieee_underflow 0
		.amdhsa_exception_fp_ieee_inexact 0
		.amdhsa_exception_int_div_zero 0
	.end_amdhsa_kernel
	.text
.Lfunc_end0:
	.size	bluestein_single_fwd_len3456_dim1_dp_op_CI_CI, .Lfunc_end0-bluestein_single_fwd_len3456_dim1_dp_op_CI_CI
                                        ; -- End function
	.section	.AMDGPU.csdata,"",@progbits
; Kernel info:
; codeLenInByte = 34020
; NumSgprs: 44
; NumVgprs: 256
; ScratchSize: 1092
; MemoryBound: 0
; FloatMode: 240
; IeeeMode: 1
; LDSByteSize: 55296 bytes/workgroup (compile time only)
; SGPRBlocks: 5
; VGPRBlocks: 63
; NumSGPRsForWavesPerEU: 44
; NumVGPRsForWavesPerEU: 256
; Occupancy: 1
; WaveLimiterHint : 1
; COMPUTE_PGM_RSRC2:SCRATCH_EN: 1
; COMPUTE_PGM_RSRC2:USER_SGPR: 6
; COMPUTE_PGM_RSRC2:TRAP_HANDLER: 0
; COMPUTE_PGM_RSRC2:TGID_X_EN: 1
; COMPUTE_PGM_RSRC2:TGID_Y_EN: 0
; COMPUTE_PGM_RSRC2:TGID_Z_EN: 0
; COMPUTE_PGM_RSRC2:TIDIG_COMP_CNT: 0
	.type	__hip_cuid_620cdc3d1658020c,@object ; @__hip_cuid_620cdc3d1658020c
	.section	.bss,"aw",@nobits
	.globl	__hip_cuid_620cdc3d1658020c
__hip_cuid_620cdc3d1658020c:
	.byte	0                               ; 0x0
	.size	__hip_cuid_620cdc3d1658020c, 1

	.ident	"AMD clang version 19.0.0git (https://github.com/RadeonOpenCompute/llvm-project roc-6.4.0 25133 c7fe45cf4b819c5991fe208aaa96edf142730f1d)"
	.section	".note.GNU-stack","",@progbits
	.addrsig
	.addrsig_sym __hip_cuid_620cdc3d1658020c
	.amdgpu_metadata
---
amdhsa.kernels:
  - .args:
      - .actual_access:  read_only
        .address_space:  global
        .offset:         0
        .size:           8
        .value_kind:     global_buffer
      - .actual_access:  read_only
        .address_space:  global
        .offset:         8
        .size:           8
        .value_kind:     global_buffer
      - .actual_access:  read_only
        .address_space:  global
        .offset:         16
        .size:           8
        .value_kind:     global_buffer
      - .actual_access:  read_only
        .address_space:  global
        .offset:         24
        .size:           8
        .value_kind:     global_buffer
      - .actual_access:  read_only
        .address_space:  global
        .offset:         32
        .size:           8
        .value_kind:     global_buffer
      - .offset:         40
        .size:           8
        .value_kind:     by_value
      - .address_space:  global
        .offset:         48
        .size:           8
        .value_kind:     global_buffer
      - .address_space:  global
        .offset:         56
        .size:           8
        .value_kind:     global_buffer
      - .address_space:  global
        .offset:         64
        .size:           8
        .value_kind:     global_buffer
      - .address_space:  global
        .offset:         72
        .size:           8
        .value_kind:     global_buffer
      - .offset:         80
        .size:           4
        .value_kind:     by_value
      - .address_space:  global
        .offset:         88
        .size:           8
        .value_kind:     global_buffer
      - .address_space:  global
        .offset:         96
        .size:           8
        .value_kind:     global_buffer
    .group_segment_fixed_size: 55296
    .kernarg_segment_align: 8
    .kernarg_segment_size: 104
    .language:       OpenCL C
    .language_version:
      - 2
      - 0
    .max_flat_workgroup_size: 144
    .name:           bluestein_single_fwd_len3456_dim1_dp_op_CI_CI
    .private_segment_fixed_size: 1092
    .sgpr_count:     44
    .sgpr_spill_count: 0
    .symbol:         bluestein_single_fwd_len3456_dim1_dp_op_CI_CI.kd
    .uniform_work_group_size: 1
    .uses_dynamic_stack: false
    .vgpr_count:     256
    .vgpr_spill_count: 272
    .wavefront_size: 64
amdhsa.target:   amdgcn-amd-amdhsa--gfx906
amdhsa.version:
  - 1
  - 2
...

	.end_amdgpu_metadata
